;; amdgpu-corpus repo=ROCm/rocFFT kind=compiled arch=gfx1201 opt=O3
	.text
	.amdgcn_target "amdgcn-amd-amdhsa--gfx1201"
	.amdhsa_code_object_version 6
	.protected	bluestein_single_fwd_len12288_dim1_half_op_CI_CI ; -- Begin function bluestein_single_fwd_len12288_dim1_half_op_CI_CI
	.globl	bluestein_single_fwd_len12288_dim1_half_op_CI_CI
	.p2align	8
	.type	bluestein_single_fwd_len12288_dim1_half_op_CI_CI,@function
bluestein_single_fwd_len12288_dim1_half_op_CI_CI: ; @bluestein_single_fwd_len12288_dim1_half_op_CI_CI
; %bb.0:
	s_load_b128 s[16:19], s[0:1], 0x28
	s_mov_b32 s2, ttmp9
	s_mov_b32 s3, 0
	s_mov_b32 s5, exec_lo
	s_wait_kmcnt 0x0
	v_cmpx_lt_u64_e64 s[2:3], s[16:17]
	s_cbranch_execz .LBB0_2
; %bb.1:
	s_clause 0x1
	s_load_b128 s[4:7], s[0:1], 0x18
	s_load_b128 s[8:11], s[0:1], 0x0
	v_dual_mov_b32 v37, s3 :: v_dual_mov_b32 v36, s2
	v_or_b32_e32 v10, 0x200, v0
	v_or_b32_e32 v9, 0x400, v0
	v_lshlrev_b32_e32 v37, 5, v0
	s_delay_alu instid0(VALU_DEP_3) | instskip(NEXT) | instid1(VALU_DEP_3)
	v_lshlrev_b32_e32 v91, 5, v10
	v_lshlrev_b32_e32 v38, 5, v9
	s_wait_kmcnt 0x0
	s_load_b128 s[12:15], s[4:5], 0x0
	s_wait_kmcnt 0x0
	v_mad_co_u64_u32 v[1:2], null, s14, v36, 0
	v_mad_co_u64_u32 v[3:4], null, s12, v0, 0
	s_mul_u64 s[2:3], s[12:13], 0x1800
	s_mul_i32 s4, s13, 0xffff6000
	s_delay_alu instid0(SALU_CYCLE_1) | instskip(NEXT) | instid1(VALU_DEP_1)
	s_sub_co_i32 s4, s4, s12
	v_mad_co_u64_u32 v[5:6], null, s15, v36, v[2:3]
	s_delay_alu instid0(VALU_DEP_1) | instskip(NEXT) | instid1(VALU_DEP_3)
	v_dual_mov_b32 v2, v5 :: v_dual_lshlrev_b32 v53, 2, v0
	v_mad_co_u64_u32 v[6:7], null, s13, v0, v[4:5]
	s_clause 0x8
	global_load_b32 v82, v53, s[8:9]
	global_load_b32 v68, v53, s[8:9] offset:2048
	global_load_b32 v58, v53, s[8:9] offset:32768
	;; [unrolled: 1-line block ×8, first 2 shown]
	v_lshlrev_b64_e32 v[1:2], 2, v[1:2]
	s_clause 0x8
	global_load_b32 v74, v53, s[8:9] offset:30720
	global_load_b32 v43, v53, s[8:9] offset:28672
	;; [unrolled: 1-line block ×9, first 2 shown]
	v_mov_b32_e32 v4, v6
	s_clause 0x2
	global_load_b32 v55, v53, s[8:9] offset:45056
	global_load_b32 v70, v53, s[8:9] offset:43008
	global_load_b32 v40, v53, s[8:9] offset:40960
	v_add_co_u32 v1, vcc_lo, s18, v1
	v_add_co_ci_u32_e32 v2, vcc_lo, s19, v2, vcc_lo
	v_lshlrev_b64_e32 v[3:4], 2, v[3:4]
	s_clause 0x2
	global_load_b32 v57, v53, s[8:9] offset:38912
	global_load_b32 v73, v53, s[8:9] offset:36864
	global_load_b32 v41, v53, s[8:9] offset:34816
	v_add_co_u32 v1, vcc_lo, v1, v3
	s_wait_alu 0xfffd
	v_add_co_ci_u32_e32 v2, vcc_lo, v2, v4, vcc_lo
	s_wait_alu 0xfffe
	s_delay_alu instid0(VALU_DEP_2) | instskip(SKIP_1) | instid1(VALU_DEP_2)
	v_add_co_u32 v3, vcc_lo, v1, s2
	s_wait_alu 0xfffd
	v_add_co_ci_u32_e32 v4, vcc_lo, s3, v2, vcc_lo
	s_clause 0x1
	global_load_b32 v7, v[1:2], off
	global_load_b32 v8, v[3:4], off
	v_add_co_u32 v1, vcc_lo, v3, s2
	s_wait_alu 0xfffd
	v_add_co_ci_u32_e32 v2, vcc_lo, s3, v4, vcc_lo
	s_delay_alu instid0(VALU_DEP_2) | instskip(SKIP_1) | instid1(VALU_DEP_2)
	v_add_co_u32 v3, vcc_lo, v1, s2
	s_wait_alu 0xfffd
	v_add_co_ci_u32_e32 v4, vcc_lo, s3, v2, vcc_lo
	global_load_b32 v11, v[1:2], off
	v_add_co_u32 v5, vcc_lo, v3, s2
	global_load_b32 v12, v[3:4], off
	s_wait_alu 0xfffd
	v_add_co_ci_u32_e32 v6, vcc_lo, s3, v4, vcc_lo
	global_load_b32 v13, v[5:6], off
	v_add_co_u32 v1, vcc_lo, v5, s2
	s_wait_alu 0xfffd
	v_add_co_ci_u32_e32 v2, vcc_lo, s3, v6, vcc_lo
	s_delay_alu instid0(VALU_DEP_2) | instskip(SKIP_1) | instid1(VALU_DEP_2)
	v_add_co_u32 v3, vcc_lo, v1, s2
	s_wait_alu 0xfffd
	v_add_co_ci_u32_e32 v4, vcc_lo, s3, v2, vcc_lo
	global_load_b32 v14, v[1:2], off
	v_add_co_u32 v5, vcc_lo, v3, s2
	s_wait_alu 0xfffd
	v_add_co_ci_u32_e32 v6, vcc_lo, s3, v4, vcc_lo
	global_load_b32 v15, v[3:4], off
	v_mad_co_u64_u32 v[1:2], null, 0xffff6000, s12, v[5:6]
	s_delay_alu instid0(VALU_DEP_1)
	v_add_nc_u32_e32 v2, s4, v2
	global_load_b32 v16, v[5:6], off
	global_load_b32 v17, v[1:2], off
	v_add_co_u32 v1, vcc_lo, v1, s2
	s_wait_alu 0xfffd
	v_add_co_ci_u32_e32 v2, vcc_lo, s3, v2, vcc_lo
	s_delay_alu instid0(VALU_DEP_2) | instskip(SKIP_1) | instid1(VALU_DEP_2)
	v_add_co_u32 v3, vcc_lo, v1, s2
	s_wait_alu 0xfffd
	v_add_co_ci_u32_e32 v4, vcc_lo, s3, v2, vcc_lo
	global_load_b32 v18, v[1:2], off
	v_add_co_u32 v1, vcc_lo, v3, s2
	s_wait_alu 0xfffd
	v_add_co_ci_u32_e32 v2, vcc_lo, s3, v4, vcc_lo
	global_load_b32 v19, v[3:4], off
	;; [unrolled: 4-line block ×6, first 2 shown]
	v_mad_co_u64_u32 v[1:2], null, 0xffff6000, s12, v[5:6]
	s_delay_alu instid0(VALU_DEP_1)
	v_add_nc_u32_e32 v2, s4, v2
	global_load_b32 v6, v[5:6], off
	global_load_b32 v24, v[1:2], off
	v_add_co_u32 v1, vcc_lo, v1, s2
	s_wait_alu 0xfffd
	v_add_co_ci_u32_e32 v2, vcc_lo, s3, v2, vcc_lo
	v_and_b32_e32 v5, 7, v0
	s_delay_alu instid0(VALU_DEP_3) | instskip(SKIP_1) | instid1(VALU_DEP_3)
	v_add_co_u32 v3, vcc_lo, v1, s2
	s_wait_alu 0xfffd
	v_add_co_ci_u32_e32 v4, vcc_lo, s3, v2, vcc_lo
	global_load_b32 v25, v[1:2], off
	v_add_co_u32 v1, vcc_lo, v3, s2
	s_wait_alu 0xfffd
	v_add_co_ci_u32_e32 v2, vcc_lo, s3, v4, vcc_lo
	global_load_b32 v26, v[3:4], off
	global_load_b32 v27, v[1:2], off
	v_add_co_u32 v1, vcc_lo, v1, s2
	s_wait_alu 0xfffd
	v_add_co_ci_u32_e32 v2, vcc_lo, s3, v2, vcc_lo
	s_delay_alu instid0(VALU_DEP_2) | instskip(SKIP_1) | instid1(VALU_DEP_2)
	v_add_co_u32 v3, vcc_lo, v1, s2
	s_wait_alu 0xfffd
	v_add_co_ci_u32_e32 v4, vcc_lo, s3, v2, vcc_lo
	global_load_b32 v28, v[1:2], off
	v_add_co_u32 v1, vcc_lo, v3, s2
	s_wait_alu 0xfffd
	v_add_co_ci_u32_e32 v2, vcc_lo, s3, v4, vcc_lo
	global_load_b32 v29, v[3:4], off
	;; [unrolled: 4-line block ×3, first 2 shown]
	global_load_b32 v2, v[3:4], off
	s_load_b128 s[4:7], s[6:7], 0x0
	s_add_nc_u64 s[2:3], s[8:9], 0xc000
	s_wait_loadcnt 0x2c
	v_lshrrev_b32_e32 v69, 16, v64
	s_wait_loadcnt 0x2b
	v_lshrrev_b32_e32 v85, 16, v80
	v_lshrrev_b32_e32 v87, 16, v82
	;; [unrolled: 1-line block ×3, first 2 shown]
	s_wait_loadcnt 0x28
	v_lshrrev_b32_e32 v86, 16, v83
	v_lshrrev_b32_e32 v71, 16, v66
	s_wait_loadcnt 0x26
	v_lshrrev_b32_e32 v79, 16, v74
	s_wait_loadcnt 0x20
	v_lshrrev_b32_e32 v84, 16, v78
	v_lshrrev_b32_e32 v81, 16, v76
	;; [unrolled: 1-line block ×3, first 2 shown]
	s_wait_loadcnt 0x1c
	v_lshrrev_b32_e32 v75, 16, v70
	v_lshrrev_b32_e32 v65, 16, v60
	;; [unrolled: 1-line block ×5, first 2 shown]
	s_wait_loadcnt 0x1a
	v_lshrrev_b32_e32 v61, 16, v57
	s_wait_loadcnt 0x19
	v_lshrrev_b32_e32 v77, 16, v73
	v_lshrrev_b32_e32 v54, 16, v49
	;; [unrolled: 1-line block ×5, first 2 shown]
	s_wait_loadcnt 0x18
	v_lshrrev_b32_e32 v46, 16, v41
	v_lshrrev_b32_e32 v44, 16, v40
	;; [unrolled: 1-line block ×3, first 2 shown]
	s_wait_loadcnt 0x17
	v_lshrrev_b32_e32 v3, 16, v7
	v_mul_f16_e32 v4, v87, v7
	s_wait_loadcnt 0x16
	v_lshrrev_b32_e32 v31, 16, v8
	v_mul_f16_e32 v32, v86, v8
	v_mul_f16_e32 v30, v87, v3
	v_fma_f16 v3, v82, v3, -v4
	s_delay_alu instid0(VALU_DEP_4) | instskip(NEXT) | instid1(VALU_DEP_4)
	v_mul_f16_e32 v4, v86, v31
	v_fma_f16 v31, v83, v31, -v32
	s_delay_alu instid0(VALU_DEP_4) | instskip(SKIP_3) | instid1(VALU_DEP_3)
	v_fmac_f16_e32 v30, v82, v7
	s_wait_loadcnt 0x15
	v_lshrrev_b32_e32 v7, 16, v11
	v_mul_f16_e32 v32, v85, v11
	v_pack_b32_f16 v3, v30, v3
	v_fmac_f16_e32 v4, v83, v8
	s_wait_loadcnt 0x14
	v_lshrrev_b32_e32 v30, 16, v12
	v_mul_f16_e32 v8, v85, v7
	v_fma_f16 v7, v80, v7, -v32
	v_mul_f16_e32 v32, v84, v12
	v_pack_b32_f16 v4, v4, v31
	s_wait_loadcnt 0x13
	v_lshrrev_b32_e32 v31, 16, v13
	v_fmac_f16_e32 v8, v80, v11
	v_mul_f16_e32 v11, v84, v30
	v_fma_f16 v30, v78, v30, -v32
	v_mul_f16_e32 v32, v81, v13
	s_delay_alu instid0(VALU_DEP_4) | instskip(NEXT) | instid1(VALU_DEP_4)
	v_pack_b32_f16 v7, v8, v7
	v_fmac_f16_e32 v11, v78, v12
	v_mul_f16_e32 v8, v81, v31
	s_delay_alu instid0(VALU_DEP_4)
	v_fma_f16 v31, v76, v31, -v32
	s_wait_loadcnt 0x12
	v_lshrrev_b32_e32 v12, 16, v14
	v_mul_f16_e32 v33, v79, v14
	v_pack_b32_f16 v11, v11, v30
	v_fmac_f16_e32 v8, v76, v13
	s_delay_alu instid0(VALU_DEP_4)
	v_mul_f16_e32 v13, v79, v12
	s_wait_loadcnt 0x11
	v_lshrrev_b32_e32 v30, 16, v15
	v_fma_f16 v12, v74, v12, -v33
	v_mul_f16_e32 v32, v77, v15
	v_pack_b32_f16 v8, v8, v31
	v_fmac_f16_e32 v13, v74, v14
	v_mul_f16_e32 v14, v77, v30
	s_delay_alu instid0(VALU_DEP_4) | instskip(NEXT) | instid1(VALU_DEP_3)
	v_fma_f16 v30, v73, v30, -v32
	v_pack_b32_f16 v12, v13, v12
	s_delay_alu instid0(VALU_DEP_3)
	v_fmac_f16_e32 v14, v73, v15
	s_wait_loadcnt 0x10
	v_lshrrev_b32_e32 v31, 16, v16
	v_mul_f16_e32 v32, v75, v16
	s_wait_loadcnt 0xf
	v_lshrrev_b32_e32 v13, 16, v17
	v_pack_b32_f16 v14, v14, v30
	v_mul_f16_e32 v33, v75, v31
	v_fma_f16 v15, v70, v31, -v32
	s_delay_alu instid0(VALU_DEP_4) | instskip(NEXT) | instid1(VALU_DEP_3)
	v_mul_f16_e32 v30, v72, v13
	v_fmac_f16_e32 v33, v70, v16
	v_mul_f16_e32 v16, v72, v17
	s_wait_loadcnt 0xe
	v_lshrrev_b32_e32 v31, 16, v18
	v_fmac_f16_e32 v30, v68, v17
	v_pack_b32_f16 v15, v33, v15
	v_fma_f16 v13, v68, v13, -v16
	v_mul_f16_e32 v16, v71, v18
	v_mul_f16_e32 v17, v71, v31
	s_wait_loadcnt 0xd
	v_lshrrev_b32_e32 v32, 16, v19
	v_mul_f16_e32 v33, v69, v19
	v_pack_b32_f16 v13, v30, v13
	v_fma_f16 v16, v66, v31, -v16
	v_fmac_f16_e32 v17, v66, v18
	v_mul_f16_e32 v18, v69, v32
	s_wait_loadcnt 0xc
	v_lshrrev_b32_e32 v31, 16, v20
	v_fma_f16 v30, v64, v32, -v33
	v_mul_f16_e32 v32, v67, v20
	ds_store_2addr_stride64_b32 v53, v3, v13 offset1:8
	v_fmac_f16_e32 v18, v64, v19
	v_mul_f16_e32 v13, v67, v31
	v_pack_b32_f16 v3, v17, v16
	s_wait_loadcnt 0xb
	v_lshrrev_b32_e32 v16, 16, v21
	v_mul_f16_e32 v17, v65, v21
	v_fma_f16 v19, v62, v31, -v32
	v_pack_b32_f16 v18, v18, v30
	v_fmac_f16_e32 v13, v62, v20
	v_mul_f16_e32 v20, v65, v16
	v_fma_f16 v16, v60, v16, -v17
	s_wait_loadcnt 0xa
	v_lshrrev_b32_e32 v17, 16, v22
	ds_store_2addr_stride64_b32 v53, v7, v18 offset0:48 offset1:56
	v_pack_b32_f16 v7, v13, v19
	s_wait_loadcnt 0x9
	v_lshrrev_b32_e32 v13, 16, v23
	v_mul_f16_e32 v30, v63, v22
	v_fmac_f16_e32 v20, v60, v21
	v_mul_f16_e32 v18, v63, v17
	v_mul_f16_e32 v19, v61, v23
	;; [unrolled: 1-line block ×3, first 2 shown]
	v_fma_f16 v17, v58, v17, -v30
	v_pack_b32_f16 v16, v20, v16
	v_fmac_f16_e32 v18, v58, v22
	s_wait_loadcnt 0x8
	v_lshrrev_b32_e32 v20, 16, v6
	v_fma_f16 v13, v57, v13, -v19
	v_fmac_f16_e32 v21, v57, v23
	v_mul_f16_e32 v19, v59, v6
	ds_store_2addr_stride64_b32 v53, v8, v16 offset0:96 offset1:104
	v_mul_f16_e32 v8, v59, v20
	v_pack_b32_f16 v16, v18, v17
	v_pack_b32_f16 v13, v21, v13
	s_wait_loadcnt 0x7
	v_lshrrev_b32_e32 v17, 16, v24
	v_fma_f16 v18, v55, v20, -v19
	v_fmac_f16_e32 v8, v55, v6
	v_mul_f16_e32 v6, v56, v24
	ds_store_2addr_stride64_b32 v53, v14, v13 offset0:144 offset1:152
	v_mul_f16_e32 v13, v56, v17
	s_wait_loadcnt 0x6
	v_lshrrev_b32_e32 v14, 16, v25
	v_pack_b32_f16 v8, v8, v18
	v_fma_f16 v6, v51, v17, -v6
	v_mul_f16_e32 v17, v54, v25
	v_fmac_f16_e32 v13, v51, v24
	v_mul_f16_e32 v18, v54, v14
	s_wait_loadcnt 0x5
	v_lshrrev_b32_e32 v19, 16, v26
	v_mul_f16_e32 v20, v52, v26
	v_fma_f16 v14, v49, v14, -v17
	v_pack_b32_f16 v6, v13, v6
	v_fmac_f16_e32 v18, v49, v25
	v_mul_f16_e32 v13, v52, v19
	v_fma_f16 v17, v47, v19, -v20
	s_wait_loadcnt 0x4
	v_lshrrev_b32_e32 v19, 16, v27
	v_mul_f16_e32 v20, v50, v27
	ds_store_2addr_stride64_b32 v53, v6, v4 offset0:16 offset1:24
	v_pack_b32_f16 v4, v18, v14
	v_fmac_f16_e32 v13, v47, v26
	v_mul_f16_e32 v6, v50, v19
	v_fma_f16 v14, v45, v19, -v20
	s_wait_loadcnt 0x3
	v_lshrrev_b32_e32 v18, 16, v28
	v_mul_f16_e32 v19, v48, v28
	ds_store_2addr_stride64_b32 v53, v3, v4 offset0:32 offset1:40
	v_pack_b32_f16 v3, v13, v17
	s_wait_loadcnt 0x2
	v_lshrrev_b32_e32 v17, 16, v29
	v_mul_f16_e32 v4, v48, v18
	v_fma_f16 v13, v43, v18, -v19
	v_mul_f16_e32 v18, v46, v29
	ds_store_2addr_stride64_b32 v53, v3, v11 offset0:64 offset1:72
	s_wait_loadcnt 0x1
	v_lshrrev_b32_e32 v3, 16, v1
	s_wait_loadcnt 0x0
	v_lshrrev_b32_e32 v19, 16, v2
	v_mul_f16_e32 v11, v46, v17
	v_fma_f16 v17, v41, v17, -v18
	v_mul_f16_e32 v18, v44, v1
	v_mul_f16_e32 v20, v44, v3
	;; [unrolled: 1-line block ×4, first 2 shown]
	v_fmac_f16_e32 v6, v45, v27
	v_fmac_f16_e32 v4, v43, v28
	v_fmac_f16_e32 v11, v41, v29
	v_fma_f16 v3, v40, v3, -v18
	v_fmac_f16_e32 v20, v40, v1
	v_fma_f16 v1, v39, v19, -v21
	v_fmac_f16_e32 v22, v39, v2
	v_pack_b32_f16 v2, v6, v14
	v_pack_b32_f16 v4, v4, v13
	v_pack_b32_f16 v6, v11, v17
	v_pack_b32_f16 v3, v20, v3
	v_pack_b32_f16 v1, v22, v1
	ds_store_2addr_stride64_b32 v53, v7, v2 offset0:80 offset1:88
	ds_store_2addr_stride64_b32 v53, v4, v12 offset0:112 offset1:120
	;; [unrolled: 1-line block ×5, first 2 shown]
	global_wb scope:SCOPE_SE
	s_wait_dscnt 0x0
	s_wait_kmcnt 0x0
	s_barrier_signal -1
	s_barrier_wait -1
	global_inv scope:SCOPE_SE
	ds_load_2addr_stride64_b32 v[1:2], v53 offset1:8
	ds_load_2addr_stride64_b32 v[3:4], v53 offset0:16 offset1:24
	ds_load_2addr_stride64_b32 v[6:7], v53 offset0:48 offset1:56
	;; [unrolled: 1-line block ×11, first 2 shown]
	v_mad_co_u64_u32 v[31:32], null, v5, 28, s[10:11]
	global_wb scope:SCOPE_SE
	s_wait_dscnt 0x0
	s_barrier_signal -1
	s_barrier_wait -1
	global_inv scope:SCOPE_SE
	v_lshrrev_b32_e32 v8, 16, v1
	v_lshrrev_b32_e32 v29, 16, v4
	;; [unrolled: 1-line block ×16, first 2 shown]
	v_sub_f16_e32 v13, v1, v13
	v_sub_f16_e32 v17, v6, v17
	;; [unrolled: 1-line block ×4, first 2 shown]
	v_lshrrev_b32_e32 v99, 16, v3
	v_lshrrev_b32_e32 v100, 16, v22
	;; [unrolled: 1-line block ×8, first 2 shown]
	v_sub_f16_e32 v14, v2, v14
	v_sub_f16_e32 v18, v7, v18
	;; [unrolled: 1-line block ×9, first 2 shown]
	v_fma_f16 v1, v1, 2.0, -v13
	v_sub_f16_e32 v88, v30, v88
	v_fma_f16 v6, v6, 2.0, -v17
	v_sub_f16_e32 v35, v29, v35
	;; [unrolled: 2-line block ×4, first 2 shown]
	v_sub_f16_e32 v97, v93, v97
	v_sub_f16_e32 v96, v92, v96
	;; [unrolled: 1-line block ×3, first 2 shown]
	v_fma_f16 v2, v2, 2.0, -v14
	v_fma_f16 v7, v7, 2.0, -v18
	;; [unrolled: 1-line block ×4, first 2 shown]
	v_sub_f16_e32 v103, v99, v103
	v_sub_f16_e32 v105, v101, v105
	;; [unrolled: 1-line block ×4, first 2 shown]
	v_fma_f16 v3, v3, 2.0, -v15
	v_fma_f16 v11, v11, 2.0, -v19
	;; [unrolled: 1-line block ×8, first 2 shown]
	v_sub_f16_e32 v6, v1, v6
	v_sub_f16_e32 v88, v13, v88
	v_add_f16_e32 v17, v34, v17
	v_sub_f16_e32 v12, v4, v12
	v_sub_f16_e32 v89, v16, v89
	v_add_f16_e32 v20, v35, v20
	v_fma_f16 v90, v90, 2.0, -v95
	v_fma_f16 v93, v93, 2.0, -v97
	;; [unrolled: 1-line block ×4, first 2 shown]
	v_sub_f16_e32 v97, v14, v97
	v_add_f16_e32 v18, v95, v18
	v_sub_f16_e32 v98, v25, v98
	v_add_f16_e32 v27, v96, v27
	v_sub_f16_e32 v7, v2, v7
	v_sub_f16_e32 v23, v21, v23
	v_fma_f16 v99, v99, 2.0, -v103
	v_fma_f16 v101, v101, 2.0, -v105
	;; [unrolled: 1-line block ×4, first 2 shown]
	v_sub_f16_e32 v105, v15, v105
	v_add_f16_e32 v19, v103, v19
	v_sub_f16_e32 v106, v26, v106
	v_add_f16_e32 v28, v104, v28
	v_sub_f16_e32 v11, v3, v11
	v_sub_f16_e32 v24, v22, v24
	;; [unrolled: 1-line block ×3, first 2 shown]
	v_fma_f16 v1, v1, 2.0, -v6
	v_fma_f16 v107, v13, 2.0, -v88
	;; [unrolled: 1-line block ×3, first 2 shown]
	v_sub_f16_e32 v13, v29, v33
	v_fma_f16 v4, v4, 2.0, -v12
	v_fma_f16 v16, v16, 2.0, -v89
	;; [unrolled: 1-line block ×3, first 2 shown]
	v_fmamk_f16 v35, v89, 0x39a8, v88
	v_sub_f16_e32 v93, v90, v93
	v_fma_f16 v109, v14, 2.0, -v97
	v_fma_f16 v95, v95, 2.0, -v18
	v_sub_f16_e32 v14, v92, v94
	v_fma_f16 v25, v25, 2.0, -v98
	v_fma_f16 v94, v96, 2.0, -v27
	v_fmamk_f16 v108, v20, 0x39a8, v17
	v_fma_f16 v2, v2, 2.0, -v7
	v_fma_f16 v21, v21, 2.0, -v23
	v_fmamk_f16 v96, v98, 0x39a8, v97
	v_sub_f16_e32 v101, v99, v101
	v_fma_f16 v15, v15, 2.0, -v105
	v_fma_f16 v103, v103, 2.0, -v19
	v_sub_f16_e32 v102, v100, v102
	v_fma_f16 v26, v26, 2.0, -v106
	v_fma_f16 v104, v104, 2.0, -v28
	v_fmamk_f16 v110, v27, 0x39a8, v18
	v_fma_f16 v3, v3, 2.0, -v11
	v_fma_f16 v22, v22, 2.0, -v24
	v_fma_f16 v29, v29, 2.0, -v13
	v_sub_f16_e32 v113, v1, v4
	v_fmamk_f16 v114, v16, 0xb9a8, v107
	v_fmamk_f16 v115, v33, 0xb9a8, v34
	v_sub_f16_e32 v13, v6, v13
	v_add_f16_e32 v12, v30, v12
	v_fmac_f16_e32 v35, 0xb9a8, v20
	v_fma_f16 v20, v90, 2.0, -v93
	v_fma_f16 v4, v92, 2.0, -v14
	v_fmamk_f16 v90, v25, 0xb9a8, v109
	v_fmamk_f16 v92, v94, 0xb9a8, v95
	;; [unrolled: 1-line block ×4, first 2 shown]
	v_fma_f16 v8, v8, 2.0, -v30
	v_fmac_f16_e32 v108, 0x39a8, v89
	v_sub_f16_e32 v89, v2, v21
	v_sub_f16_e32 v21, v7, v14
	v_fmac_f16_e32 v96, 0xb9a8, v27
	v_fma_f16 v27, v99, 2.0, -v101
	v_fma_f16 v14, v100, 2.0, -v102
	v_fmamk_f16 v99, v26, 0xb9a8, v15
	v_fmamk_f16 v100, v104, 0xb9a8, v103
	v_add_f16_e32 v23, v93, v23
	v_fmac_f16_e32 v110, 0x39a8, v98
	v_sub_f16_e32 v98, v3, v22
	v_sub_f16_e32 v22, v11, v102
	v_add_f16_e32 v24, v101, v24
	v_fma_f16 v102, v1, 2.0, -v113
	v_fmac_f16_e32 v114, 0xb9a8, v33
	v_fmac_f16_e32 v115, 0x39a8, v16
	v_fma_f16 v1, v6, 2.0, -v13
	v_fma_f16 v6, v30, 2.0, -v12
	v_sub_f16_e32 v30, v20, v4
	v_fmac_f16_e32 v90, 0xb9a8, v94
	v_fmac_f16_e32 v92, 0x39a8, v25
	;; [unrolled: 1-line block ×4, first 2 shown]
	v_sub_f16_e32 v28, v8, v29
	v_sub_f16_e32 v94, v27, v14
	v_fmac_f16_e32 v99, 0xb9a8, v104
	v_fmac_f16_e32 v100, 0x39a8, v26
	v_fma_f16 v16, v88, 2.0, -v35
	v_fma_f16 v29, v17, 2.0, -v108
	;; [unrolled: 1-line block ×9, first 2 shown]
	v_pack_b32_f16 v4, v35, v108
	v_pack_b32_f16 v3, v13, v12
	;; [unrolled: 1-line block ×4, first 2 shown]
	v_fma_f16 v23, v107, 2.0, -v114
	v_fma_f16 v24, v34, 2.0, -v115
	;; [unrolled: 1-line block ×9, first 2 shown]
	v_pack_b32_f16 v14, v96, v110
	v_fma_f16 v27, v27, 2.0, -v94
	v_fma_f16 v96, v15, 2.0, -v99
	;; [unrolled: 1-line block ×3, first 2 shown]
	v_pack_b32_f16 v12, v90, v92
	v_pack_b32_f16 v11, v89, v30
	;; [unrolled: 1-line block ×19, first 2 shown]
	ds_store_b128 v91, v[11:14] offset:16
	ds_store_b128 v38, v[15:18] offset:16
	;; [unrolled: 1-line block ×4, first 2 shown]
	ds_store_b128 v37, v[19:22]
	ds_store_b128 v37, v[27:30] offset:32768
	global_wb scope:SCOPE_SE
	s_wait_dscnt 0x0
	s_barrier_signal -1
	s_barrier_wait -1
	global_inv scope:SCOPE_SE
	s_clause 0x1
	global_load_b128 v[1:4], v[31:32], off
	global_load_b96 v[21:23], v[31:32], off offset:16
	v_lshlrev_b32_e32 v6, 3, v0
	v_lshlrev_b32_e32 v8, 3, v10
	;; [unrolled: 1-line block ×3, first 2 shown]
	s_delay_alu instid0(VALU_DEP_3) | instskip(NEXT) | instid1(VALU_DEP_3)
	v_and_or_b32 v7, 0xfc0, v6, v5
	v_and_or_b32 v28, 0x1fc0, v8, v5
	s_delay_alu instid0(VALU_DEP_3) | instskip(SKIP_1) | instid1(VALU_DEP_4)
	v_and_or_b32 v5, 0x2fc0, v11, v5
	v_and_b32_e32 v6, 63, v0
	v_lshlrev_b32_e32 v90, 2, v7
	ds_load_2addr_stride64_b32 v[7:8], v53 offset1:8
	ds_load_2addr_stride64_b32 v[11:12], v53 offset0:16 offset1:24
	ds_load_2addr_stride64_b32 v[13:14], v53 offset0:48 offset1:56
	ds_load_2addr_stride64_b32 v[15:16], v53 offset0:64 offset1:72
	ds_load_2addr_stride64_b32 v[17:18], v53 offset0:96 offset1:104
	ds_load_2addr_stride64_b32 v[19:20], v53 offset0:112 offset1:120
	ds_load_2addr_stride64_b32 v[24:25], v53 offset0:144 offset1:152
	ds_load_2addr_stride64_b32 v[26:27], v53 offset0:160 offset1:168
	v_lshlrev_b32_e32 v89, 2, v28
	ds_load_2addr_stride64_b32 v[28:29], v53 offset0:32 offset1:40
	ds_load_2addr_stride64_b32 v[30:31], v53 offset0:80 offset1:88
	;; [unrolled: 1-line block ×4, first 2 shown]
	v_lshlrev_b32_e32 v88, 2, v5
	v_mad_co_u64_u32 v[34:35], null, v6, 12, s[10:11]
	global_wb scope:SCOPE_SE
	s_wait_loadcnt_dscnt 0x0
	s_barrier_signal -1
	s_barrier_wait -1
	global_inv scope:SCOPE_SE
	v_lshrrev_b32_e32 v5, 16, v7
	v_lshrrev_b32_e32 v94, 16, v12
	;; [unrolled: 1-line block ×31, first 2 shown]
	v_mul_f16_e32 v124, v94, v110
	v_mul_f16_e32 v125, v12, v110
	;; [unrolled: 1-line block ×4, first 2 shown]
	v_mul_f16_e64 v128, v96, v111
	v_mul_f16_e64 v129, v16, v111
	v_mul_f16_e64 v130, v97, v109
	v_mul_f16_e64 v131, v17, v109
	v_mul_f16_e64 v132, v98, v108
	v_mul_f16_e64 v133, v20, v108
	v_mul_f16_e64 v134, v99, v107
	v_mul_f16_e64 v135, v24, v107
	v_mul_f16_e64 v136, v100, v106
	v_mul_f16_e64 v137, v27, v106
	v_mul_f16_e64 v138, v102, v110
	v_mul_f16_e64 v139, v28, v110
	v_mul_f16_e64 v140, v103, v112
	v_mul_f16_e64 v141, v14, v112
	v_mul_f16_e64 v142, v104, v111
	v_mul_f16_e64 v143, v30, v111
	v_mul_f16_e64 v144, v105, v109
	v_mul_f16_e64 v145, v18, v109
	v_mul_f16_e64 v146, v113, v108
	v_mul_f16_e64 v147, v32, v108
	v_mul_f16_e64 v148, v114, v107
	v_mul_f16_e64 v149, v25, v107
	v_mul_f16_e64 v150, v115, v106
	v_mul_f16_e64 v151, v92, v106
	v_mul_f16_e64 v152, v117, v110
	v_mul_f16_e64 v153, v29, v110
	v_mul_f16_e64 v154, v118, v112
	v_mul_f16_e64 v155, v15, v112
	v_mul_f16_e64 v156, v119, v111
	v_mul_f16_e64 v157, v31, v111
	v_mul_f16_e64 v158, v120, v109
	v_mul_f16_e64 v159, v19, v109
	v_mul_f16_e64 v160, v121, v108
	v_mul_f16_e64 v161, v33, v108
	v_mul_f16_e64 v162, v122, v107
	v_mul_f16_e64 v163, v26, v107
	v_mul_f16_e64 v164, v123, v106
	v_mul_f16_e64 v165, v93, v106
	v_fma_f16 v12, v12, v1, -v124
	v_fmac_f16_e32 v125, v94, v1
	v_fma_f16 v13, v13, v2, -v126
	v_fmac_f16_e32 v127, v95, v2
	v_fma_f16 v16, v16, v3, -v128
	v_fmac_f16_e64 v129, v96, v3
	v_fma_f16 v17, v17, v4, -v130
	v_fmac_f16_e64 v131, v97, v4
	;; [unrolled: 2-line block ×19, first 2 shown]
	v_sub_f16_e32 v17, v7, v17
	v_sub_f16_e64 v94, v5, v131
	v_sub_f16_e32 v24, v13, v24
	v_sub_f16_e64 v95, v127, v135
	;; [unrolled: 2-line block ×12, first 2 shown]
	v_fma_f16 v7, v7, 2.0, -v17
	v_fma_f16 v5, v5, 2.0, -v94
	v_fma_f16 v13, v13, 2.0, -v24
	v_fma_f16 v114, v127, 2.0, -v95
	v_fma_f16 v12, v12, 2.0, -v20
	v_fma_f16 v115, v125, 2.0, -v96
	v_fma_f16 v16, v16, 2.0, -v27
	v_fma_f16 v117, v129, 2.0, -v97
	v_sub_f16_e32 v95, v17, v95
	v_add_f16_e32 v24, v94, v24
	v_sub_f16_e32 v97, v20, v97
	v_add_f16_e32 v27, v96, v27
	v_fma_f16 v8, v8, 2.0, -v18
	v_fma_f16 v101, v101, 2.0, -v98
	v_fma_f16 v14, v14, 2.0, -v25
	v_fma_f16 v118, v141, 2.0, -v99
	v_fma_f16 v28, v28, 2.0, -v32
	v_fma_f16 v119, v139, 2.0, -v100
	v_fma_f16 v30, v30, 2.0, -v92
	v_fma_f16 v120, v143, 2.0, -v102
	v_sub_f16_e32 v99, v18, v99
	v_add_f16_e32 v25, v98, v25
	v_sub_f16_e32 v102, v32, v102
	v_add_f16_e32 v92, v100, v92
	;; [unrolled: 12-line block ×3, first 2 shown]
	v_sub_f16_e32 v13, v7, v13
	v_sub_f16_e32 v114, v5, v114
	v_fma_f16 v17, v17, 2.0, -v95
	v_fma_f16 v94, v94, 2.0, -v24
	v_sub_f16_e32 v16, v12, v16
	v_sub_f16_e32 v117, v115, v117
	v_fma_f16 v20, v20, 2.0, -v97
	v_fma_f16 v96, v96, 2.0, -v27
	v_fmamk_f16 v124, v97, 0x39a8, v95
	v_fmamk_f16 v125, v27, 0x39a8, v24
	v_sub_f16_e32 v14, v8, v14
	v_sub_f16_e32 v118, v101, v118
	v_fma_f16 v18, v18, 2.0, -v99
	v_fma_f16 v98, v98, 2.0, -v25
	v_sub_f16_e32 v30, v28, v30
	v_sub_f16_e32 v120, v119, v120
	v_fma_f16 v32, v32, 2.0, -v102
	v_fma_f16 v100, v100, 2.0, -v92
	v_fmamk_f16 v126, v102, 0x39a8, v99
	v_fmamk_f16 v127, v92, 0x39a8, v25
	v_sub_f16_e32 v15, v11, v15
	v_sub_f16_e32 v121, v116, v121
	v_fma_f16 v19, v19, 2.0, -v104
	v_fma_f16 v103, v103, 2.0, -v26
	v_sub_f16_e32 v31, v29, v31
	v_sub_f16_e32 v123, v122, v123
	v_fma_f16 v33, v33, 2.0, -v113
	v_fma_f16 v105, v105, 2.0, -v93
	v_fma_f16 v128, 0x39a8, v113, v104
	v_fma_f16 v129, 0x39a8, v93, v26
	v_fma_f16 v7, v7, 2.0, -v13
	v_fma_f16 v5, v5, 2.0, -v114
	v_fma_f16 v12, v12, 2.0, -v16
	v_fma_f16 v115, v115, 2.0, -v117
	v_fma_f16 v130, 0xb9a8, v20, v17
	v_fma_f16 v131, 0xb9a8, v96, v94
	v_sub_f16_e32 v117, v13, v117
	v_add_f16_e32 v16, v114, v16
	v_fmac_f16_e32 v124, 0xb9a8, v27
	v_fmac_f16_e32 v125, 0x39a8, v97
	v_fma_f16 v8, v8, 2.0, -v14
	v_fma_f16 v27, v101, 2.0, -v118
	;; [unrolled: 1-line block ×4, first 2 shown]
	v_fmamk_f16 v101, v32, 0xb9a8, v18
	v_fmamk_f16 v119, v100, 0xb9a8, v98
	v_fmac_f16_e32 v126, 0xb9a8, v92
	v_fmac_f16_e32 v127, 0x39a8, v102
	v_fma_f16 v11, v11, 2.0, -v15
	v_fma_f16 v92, v116, 2.0, -v121
	;; [unrolled: 1-line block ×4, first 2 shown]
	v_fmamk_f16 v116, v33, 0xb9a8, v19
	v_fmamk_f16 v122, v105, 0xb9a8, v103
	v_sub_f16_e32 v120, v14, v120
	v_add_f16_e32 v30, v118, v30
	v_sub_f16_e32 v123, v15, v123
	v_add_f16_e32 v31, v121, v31
	v_fmac_f16_e64 v128, 0xb9a8, v93
	v_fmac_f16_e64 v129, 0x39a8, v113
	v_sub_f16_e32 v12, v7, v12
	v_sub_f16_e32 v93, v5, v115
	v_fmac_f16_e64 v130, 0xb9a8, v96
	v_fmac_f16_e64 v131, 0x39a8, v20
	v_fma_f16 v13, v13, 2.0, -v117
	v_fma_f16 v20, v114, 2.0, -v16
	;; [unrolled: 1-line block ×4, first 2 shown]
	v_sub_f16_e32 v28, v8, v28
	v_sub_f16_e32 v96, v27, v97
	v_fmac_f16_e32 v101, 0xb9a8, v100
	v_fmac_f16_e32 v119, 0x39a8, v32
	v_fma_f16 v97, v99, 2.0, -v126
	v_sub_f16_e32 v29, v11, v29
	v_sub_f16_e32 v99, v92, v102
	v_fmac_f16_e32 v116, 0xb9a8, v105
	v_fmac_f16_e32 v122, 0x39a8, v33
	v_fma_f16 v14, v14, 2.0, -v120
	v_fma_f16 v32, v118, 2.0, -v30
	;; [unrolled: 1-line block ×7, first 2 shown]
	v_pack_b32_f16 v16, v117, v16
	v_pack_b32_f16 v102, v124, v125
	;; [unrolled: 1-line block ×4, first 2 shown]
	v_fma_f16 v7, v7, 2.0, -v12
	v_fma_f16 v5, v5, 2.0, -v93
	v_fma_f16 v17, v17, 2.0, -v130
	v_fma_f16 v94, v94, 2.0, -v131
	v_pack_b32_f16 v31, v123, v31
	v_pack_b32_f16 v105, v128, v129
	v_fma_f16 v8, v8, 2.0, -v28
	v_fma_f16 v27, v27, 2.0, -v96
	v_fma_f16 v18, v18, 2.0, -v101
	v_fma_f16 v98, v98, 2.0, -v119
	v_pack_b32_f16 v13, v13, v20
	v_pack_b32_f16 v20, v95, v24
	;; [unrolled: 6-line block ×3, first 2 shown]
	ds_store_2addr_b32 v90, v16, v102 offset0:48 offset1:56
	v_pack_b32_f16 v14, v14, v32
	v_pack_b32_f16 v16, v97, v25
	;; [unrolled: 1-line block ×6, first 2 shown]
	ds_store_2addr_b32 v89, v30, v104 offset0:48 offset1:56
	v_pack_b32_f16 v29, v29, v99
	v_pack_b32_f16 v30, v116, v122
	;; [unrolled: 1-line block ×4, first 2 shown]
	ds_store_2addr_b32 v88, v31, v105 offset0:48 offset1:56
	ds_store_2addr_b32 v90, v13, v20 offset0:16 offset1:24
	;; [unrolled: 1-line block ×3, first 2 shown]
	v_pack_b32_f16 v8, v8, v27
	v_pack_b32_f16 v12, v18, v98
	;; [unrolled: 1-line block ×4, first 2 shown]
	ds_store_2addr_b32 v89, v14, v16 offset0:16 offset1:24
	ds_store_2addr_b32 v89, v25, v28 offset0:32 offset1:40
	;; [unrolled: 1-line block ×4, first 2 shown]
	ds_store_2addr_b32 v90, v5, v7 offset1:8
	ds_store_2addr_b32 v89, v8, v12 offset1:8
	;; [unrolled: 1-line block ×3, first 2 shown]
	global_wb scope:SCOPE_SE
	s_wait_dscnt 0x0
	s_barrier_signal -1
	s_barrier_wait -1
	global_inv scope:SCOPE_SE
	global_load_b96 v[24:26], v[34:35], off offset:224
	v_or_b32_e32 v11, 0x600, v0
	v_and_or_b32 v5, 0x700, v53, v6
	v_lshlrev_b32_e32 v7, 2, v10
	v_lshlrev_b32_e32 v8, 2, v9
	v_or_b32_e32 v14, 0x2000, v53
	v_lshlrev_b32_e32 v13, 2, v11
	v_or_b32_e32 v15, 0x2800, v53
	v_lshlrev_b32_e32 v95, 2, v5
	v_and_or_b32 v5, 0xf00, v7, v6
	v_and_or_b32 v7, 0x1700, v8, v6
	;; [unrolled: 1-line block ×5, first 2 shown]
	v_lshlrev_b32_e32 v97, 2, v5
	v_lshlrev_b32_e32 v96, 2, v7
	;; [unrolled: 1-line block ×3, first 2 shown]
	ds_load_2addr_stride64_b32 v[5:6], v53 offset1:8
	ds_load_2addr_stride64_b32 v[7:8], v53 offset0:48 offset1:56
	ds_load_2addr_stride64_b32 v[13:14], v53 offset0:96 offset1:104
	;; [unrolled: 1-line block ×11, first 2 shown]
	v_and_b32_e32 v12, 0xff, v0
	v_lshlrev_b32_e32 v94, 2, v17
	v_lshlrev_b32_e32 v93, 2, v18
	global_wb scope:SCOPE_SE
	s_wait_loadcnt_dscnt 0x0
	s_barrier_signal -1
	v_mad_co_u64_u32 v[17:18], null, v12, 20, s[10:11]
	s_barrier_wait -1
	global_inv scope:SCOPE_SE
	v_lshrrev_b32_e32 v10, 8, v10
	v_lshrrev_b32_e32 v9, 8, v9
	;; [unrolled: 1-line block ×27, first 2 shown]
	v_mul_u32_u24_e32 v10, 0x600, v10
	v_mul_u32_u24_e32 v9, 0x600, v9
	;; [unrolled: 1-line block ×3, first 2 shown]
	s_delay_alu instid0(VALU_DEP_3) | instskip(SKIP_3) | instid1(VALU_DEP_3)
	v_or_b32_e32 v10, v10, v12
	v_lshrrev_b32_e32 v105, 16, v24
	v_lshrrev_b32_e32 v103, 16, v25
	v_lshrrev_b32_e32 v104, 16, v26
	v_mul_f16_e64 v137, v102, v105
	v_mul_f16_e64 v138, v7, v105
	s_delay_alu instid0(VALU_DEP_4)
	v_mul_f16_e64 v139, v115, v103
	v_mul_f16_e64 v140, v13, v103
	;; [unrolled: 1-line block ×34, first 2 shown]
	v_fma_f16 v7, v7, v24, -v137
	v_fmac_f16_e64 v138, v102, v24
	v_fma_f16 v13, v13, v25, -v139
	v_fmac_f16_e64 v140, v115, v25
	;; [unrolled: 2-line block ×18, first 2 shown]
	v_sub_f16_e32 v13, v5, v13
	v_sub_f16_e64 v114, v35, v140
	v_sub_f16_e32 v15, v7, v15
	v_sub_f16_e64 v115, v138, v142
	;; [unrolled: 2-line block ×12, first 2 shown]
	v_fma_f16 v5, v5, 2.0, -v13
	v_fma_f16 v35, v35, 2.0, -v114
	;; [unrolled: 1-line block ×12, first 2 shown]
	v_sub_f16_e32 v115, v13, v115
	v_add_f16_e32 v15, v114, v15
	v_fma_f16 v20, v20, 2.0, -v30
	v_fma_f16 v125, v125, 2.0, -v122
	;; [unrolled: 1-line block ×12, first 2 shown]
	v_sub_f16_e32 v7, v5, v7
	v_sub_f16_e64 v130, v35, v130
	v_sub_f16_e32 v118, v14, v118
	v_add_f16_e32 v16, v116, v16
	v_sub_f16_e32 v8, v6, v8
	v_sub_f16_e64 v131, v117, v131
	v_sub_f16_e32 v120, v29, v120
	v_add_f16_e32 v31, v119, v31
	;; [unrolled: 4-line block ×3, first 2 shown]
	v_sub_f16_e32 v126, v100, v126
	v_add_f16_e32 v102, v124, v102
	v_sub_f16_e64 v128, v101, v128
	v_add_f16_e32 v113, v127, v113
	v_fma_f16 v13, v13, 2.0, -v115
	v_fma_f16 v114, v114, 2.0, -v15
	v_sub_f16_e32 v28, v20, v28
	v_sub_f16_e64 v134, v125, v134
	v_sub_f16_e32 v98, v33, v98
	v_sub_f16_e64 v135, v129, v135
	;; [unrolled: 2-line block ×3, first 2 shown]
	v_fma_f16 v5, v5, 2.0, -v7
	v_fma_f16 v35, v35, 2.0, -v130
	;; [unrolled: 1-line block ×4, first 2 shown]
	v_pack_b32_f16 v15, v115, v15
	v_fma_f16 v6, v6, 2.0, -v8
	v_fma_f16 v115, v117, 2.0, -v131
	;; [unrolled: 1-line block ×12, first 2 shown]
	v_pack_b32_f16 v16, v118, v16
	v_pack_b32_f16 v31, v120, v31
	v_fma_f16 v20, v20, 2.0, -v28
	v_fma_f16 v118, v125, 2.0, -v134
	;; [unrolled: 1-line block ×6, first 2 shown]
	v_pack_b32_f16 v13, v13, v114
	v_pack_b32_f16 v5, v5, v35
	;; [unrolled: 1-line block ×21, first 2 shown]
	ds_store_2addr_stride64_b32 v95, v5, v13 offset1:1
	ds_store_2addr_stride64_b32 v95, v7, v15 offset0:2 offset1:3
	ds_store_2addr_stride64_b32 v97, v6, v14 offset1:1
	ds_store_2addr_stride64_b32 v97, v8, v16 offset0:2 offset1:3
	;; [unrolled: 2-line block ×6, first 2 shown]
	global_wb scope:SCOPE_SE
	s_wait_dscnt 0x0
	s_barrier_signal -1
	s_barrier_wait -1
	global_inv scope:SCOPE_SE
	s_clause 0x1
	global_load_b128 v[5:8], v[17:18], off offset:992
	global_load_b32 v102, v[17:18], off offset:1008
	v_lshrrev_b32_e32 v13, 8, v0
	v_or_b32_e32 v27, v9, v12
	v_or_b32_e32 v28, v11, v12
	v_lshlrev_b32_e32 v101, 2, v10
	s_delay_alu instid0(VALU_DEP_4) | instskip(NEXT) | instid1(VALU_DEP_4)
	v_mul_u32_u24_e32 v13, 0x600, v13
	v_lshlrev_b32_e32 v99, 2, v27
	s_delay_alu instid0(VALU_DEP_4) | instskip(SKIP_1) | instid1(VALU_DEP_4)
	v_lshlrev_b32_e32 v98, 2, v28
	v_mad_co_u64_u32 v[27:28], null, v0, 28, s[10:11]
	v_or_b32_e32 v13, v13, v12
	s_delay_alu instid0(VALU_DEP_1)
	v_lshlrev_b32_e32 v100, 2, v13
	ds_load_2addr_stride64_b32 v[9:10], v53 offset1:8
	ds_load_2addr_stride64_b32 v[11:12], v53 offset0:32 offset1:40
	ds_load_2addr_stride64_b32 v[13:14], v53 offset0:64 offset1:72
	;; [unrolled: 1-line block ×11, first 2 shown]
	global_wb scope:SCOPE_SE
	s_wait_loadcnt_dscnt 0x0
	s_barrier_signal -1
	s_barrier_wait -1
	global_inv scope:SCOPE_SE
	v_lshrrev_b32_e32 v35, 16, v9
	v_lshrrev_b32_e32 v124, 16, v11
	;; [unrolled: 1-line block ×29, first 2 shown]
	v_mul_f16_e64 v149, v125, v116
	v_mul_f16_e64 v150, v13, v116
	;; [unrolled: 1-line block ×38, first 2 shown]
	v_fma_f16 v13, v13, v6, -v149
	v_fmac_f16_e64 v150, v125, v6
	v_fma_f16 v15, v15, v7, -v151
	v_fmac_f16_e64 v152, v126, v7
	;; [unrolled: 2-line block ×4, first 2 shown]
	v_mul_f16_e64 v173, v139, v114
	v_fma_f16 v11, v11, v5, -v147
	v_fmac_f16_e64 v148, v124, v5
	v_fma_f16 v14, v14, v6, -v159
	v_fmac_f16_e64 v160, v131, v6
	;; [unrolled: 2-line block ×5, first 2 shown]
	v_mul_f16_e64 v183, v145, v114
	v_fma_f16 v12, v12, v5, -v157
	v_fmac_f16_e64 v158, v130, v5
	v_fma_f16 v31, v31, v5, -v167
	v_fmac_f16_e64 v168, v136, v5
	;; [unrolled: 2-line block ×4, first 2 shown]
	v_fmac_f16_e64 v174, v139, v8
	v_fma_f16 v122, v122, v102, -v175
	v_fmac_f16_e64 v176, v140, v102
	v_fmac_f16_e64 v180, v143, v6
	v_fma_f16 v119, v119, v7, -v181
	v_fmac_f16_e64 v182, v144, v7
	v_fmac_f16_e64 v184, v145, v8
	v_fma_f16 v123, v123, v102, -v185
	v_fmac_f16_e64 v186, v146, v102
	v_fma_f16 v32, v32, v5, -v177
	v_fmac_f16_e64 v178, v142, v5
	v_fma_f16 v34, v34, v6, -v179
	v_add_f16_e32 v125, v13, v17
	v_add_f16_e64 v128, v150, v154
	v_add_f16_e64 v131, v15, v19
	;; [unrolled: 1-line block ×3, first 2 shown]
	v_fma_f16 v120, v120, v8, -v173
	v_add_f16_e32 v124, v9, v13
	v_add_f16_e64 v127, v35, v150
	v_add_f16_e64 v130, v11, v15
	;; [unrolled: 1-line block ×7, first 2 shown]
	v_fma_f16 v121, v121, v8, -v183
	v_sub_f16_e64 v126, v150, v154
	v_sub_f16_e64 v132, v152, v156
	v_add_f16_e64 v136, v10, v14
	v_sub_f16_e64 v138, v160, v164
	v_add_f16_e64 v139, v129, v160
	v_add_f16_e64 v142, v12, v16
	;; [unrolled: 1-line block ×4, first 2 shown]
	v_sub_f16_e64 v150, v170, v174
	v_add_f16_e64 v151, v135, v170
	v_add_f16_e64 v152, v170, v174
	;; [unrolled: 1-line block ×9, first 2 shown]
	v_sub_f16_e32 v13, v13, v17
	v_sub_f16_e32 v15, v15, v19
	v_sub_f16_e64 v157, v172, v176
	v_add_f16_e64 v161, v30, v34
	v_add_f16_e64 v165, v141, v180
	v_add_f16_e64 v169, v32, v119
	v_add_f16_e64 v172, v178, v182
	v_fma_f16 v9, -0.5, v125, v9
	v_fmac_f16_e64 v35, -0.5, v128
	v_fmac_f16_e64 v11, -0.5, v131
	;; [unrolled: 1-line block ×3, first 2 shown]
	v_sub_f16_e32 v14, v14, v18
	v_sub_f16_e64 v144, v162, v166
	v_sub_f16_e32 v16, v16, v20
	v_add_f16_e64 v149, v33, v120
	v_add_f16_e32 v17, v124, v17
	v_add_f16_e64 v124, v127, v154
	v_add_f16_e64 v19, v130, v19
	;; [unrolled: 1-line block ×3, first 2 shown]
	v_fmac_f16_e64 v10, -0.5, v137
	v_fmac_f16_e64 v129, -0.5, v140
	;; [unrolled: 1-line block ×4, first 2 shown]
	v_sub_f16_e32 v33, v33, v120
	v_sub_f16_e32 v118, v118, v122
	v_add_f16_e64 v162, v34, v121
	v_sub_f16_e32 v34, v34, v121
	v_sub_f16_e64 v171, v182, v186
	v_sub_f16_e32 v119, v119, v123
	v_add_f16_e64 v18, v136, v18
	v_add_f16_e64 v127, v139, v164
	;; [unrolled: 1-line block ×6, first 2 shown]
	v_fmac_f16_e64 v135, -0.5, v152
	v_add_f16_e64 v122, v153, v122
	v_fmac_f16_e64 v31, -0.5, v155
	v_add_f16_e64 v131, v159, v176
	v_fmac_f16_e64 v168, -0.5, v160
	v_fmac_f16_e64 v141, -0.5, v167
	;; [unrolled: 1-line block ×4, first 2 shown]
	v_add_f16_e64 v121, v161, v121
	v_add_f16_e64 v133, v165, v184
	v_add_f16_e64 v123, v169, v123
	v_add_f16_e64 v134, v172, v186
	v_fma_f16 v136, 0x3aee, v126, v9
	v_fmac_f16_e32 v9, 0xbaee, v126
	v_fmamk_f16 v126, v13, 0xbaee, v35
	v_fmac_f16_e32 v35, 0x3aee, v13
	v_fma_f16 v13, 0x3aee, v132, v11
	v_fmac_f16_e64 v11, 0xbaee, v132
	v_fma_f16 v132, 0xbaee, v15, v148
	v_fmac_f16_e64 v148, 0x3aee, v15
	v_fma_f16 v29, -0.5, v149, v29
	v_add_f16_e32 v15, v17, v19
	v_add_f16_e64 v137, v124, v125
	v_sub_f16_e32 v17, v17, v19
	v_sub_f16_e32 v19, v124, v125
	v_fma_f16 v124, 0x3aee, v138, v10
	v_fmac_f16_e64 v10, 0xbaee, v138
	v_fma_f16 v125, 0xbaee, v14, v129
	v_fmac_f16_e64 v129, 0x3aee, v14
	v_fma_f16 v14, 0x3aee, v144, v12
	v_fma_f16 v138, 0xbaee, v16, v158
	v_fmac_f16_e64 v12, 0xbaee, v144
	v_fmac_f16_e64 v158, 0x3aee, v16
	v_add_f16_e32 v16, v18, v20
	v_add_f16_e64 v139, v127, v128
	v_sub_f16_e32 v18, v18, v20
	v_sub_f16_e64 v20, v127, v128
	v_fma_f16 v128, 0xbaee, v33, v135
	v_fmac_f16_e64 v135, 0x3aee, v33
	v_fma_f16 v33, 0x3aee, v157, v31
	v_fmac_f16_e64 v31, 0xbaee, v157
	;; [unrolled: 2-line block ×3, first 2 shown]
	v_add_f16_e32 v118, v120, v122
	v_add_f16_e64 v142, v130, v131
	v_sub_f16_e32 v120, v120, v122
	v_sub_f16_e64 v122, v130, v131
	v_fma_f16 v131, 0xbaee, v34, v141
	v_fmac_f16_e64 v141, 0x3aee, v34
	v_fma_f16 v34, 0x3aee, v171, v32
	v_fmac_f16_e64 v32, 0xbaee, v171
	;; [unrolled: 2-line block ×3, first 2 shown]
	v_add_f16_e32 v119, v121, v123
	v_add_f16_e64 v144, v133, v134
	v_sub_f16_e32 v121, v121, v123
	v_sub_f16_e64 v123, v133, v134
	v_mul_f16_e64 v133, 0x3aee, v132
	v_mul_f16_e64 v145, 0xbaee, v13
	v_mul_f16_e64 v134, -0.5, v11
	v_mul_f16_e64 v146, -0.5, v148
	v_fma_f16 v127, 0x3aee, v150, v29
	v_fmac_f16_e64 v29, 0xbaee, v150
	v_mul_f16_e64 v147, 0x3aee, v138
	v_mul_f16_e64 v150, 0xbaee, v14
	v_sub_f16_e64 v163, v180, v184
	v_fmac_f16_e64 v30, -0.5, v162
	v_mul_f16_e64 v149, -0.5, v12
	v_mul_f16_e64 v151, -0.5, v158
	v_mul_f16_e64 v152, 0x3aee, v140
	v_mul_f16_e64 v153, -0.5, v31
	v_mul_f16_e64 v154, 0xbaee, v33
	v_mul_f16_e64 v155, -0.5, v168
	v_mul_f16_e64 v157, -0.5, v32
	;; [unrolled: 1-line block ×3, first 2 shown]
	v_mul_f16_e64 v156, 0x3aee, v143
	v_mul_f16_e64 v159, 0xbaee, v34
	v_fmac_f16_e64 v133, 0.5, v13
	v_fmac_f16_e64 v145, 0.5, v132
	v_fmac_f16_e64 v134, 0x3aee, v148
	v_fmac_f16_e64 v146, 0xbaee, v11
	v_fmac_f16_e64 v147, 0.5, v14
	v_fmac_f16_e64 v150, 0.5, v138
	v_fma_f16 v130, 0x3aee, v163, v30
	v_fmac_f16_e64 v30, 0xbaee, v163
	v_fmac_f16_e64 v149, 0x3aee, v158
	;; [unrolled: 1-line block ×3, first 2 shown]
	v_fmac_f16_e64 v152, 0.5, v33
	v_fmac_f16_e64 v153, 0x3aee, v168
	v_fmac_f16_e64 v154, 0.5, v140
	v_fmac_f16_e64 v155, 0xbaee, v31
	v_fmac_f16_e64 v157, 0x3aee, v178
	;; [unrolled: 1-line block ×3, first 2 shown]
	v_fmac_f16_e64 v156, 0.5, v34
	v_fmac_f16_e64 v159, 0.5, v143
	v_add_f16_e64 v11, v136, v133
	v_add_f16_e64 v13, v126, v145
	;; [unrolled: 1-line block ×4, first 2 shown]
	v_sub_f16_e64 v31, v136, v133
	v_sub_f16_e64 v9, v9, v134
	;; [unrolled: 1-line block ×4, first 2 shown]
	v_pack_b32_f16 v18, v18, v20
	v_pack_b32_f16 v20, v120, v122
	v_add_f16_e64 v34, v124, v147
	v_add_f16_e64 v120, v125, v150
	v_pack_b32_f16 v17, v17, v19
	v_pack_b32_f16 v19, v118, v142
	;; [unrolled: 1-line block ×4, first 2 shown]
	v_add_f16_e64 v35, v10, v149
	v_add_f16_e64 v121, v129, v151
	v_sub_f16_e64 v122, v124, v147
	v_sub_f16_e64 v10, v10, v149
	;; [unrolled: 1-line block ×4, first 2 shown]
	v_add_f16_e64 v125, v127, v152
	v_add_f16_e64 v126, v29, v153
	;; [unrolled: 1-line block ×4, first 2 shown]
	v_sub_f16_e64 v127, v127, v152
	v_sub_f16_e64 v29, v29, v153
	;; [unrolled: 1-line block ×4, first 2 shown]
	v_add_f16_e64 v135, v30, v157
	v_sub_f16_e64 v30, v30, v157
	v_sub_f16_e64 v138, v141, v160
	v_pack_b32_f16 v15, v15, v137
	v_add_f16_e64 v134, v130, v156
	v_add_f16_e64 v136, v131, v159
	v_add_f16_e64 v137, v141, v160
	v_sub_f16_e64 v130, v130, v156
	v_sub_f16_e64 v131, v131, v159
	v_pack_b32_f16 v11, v11, v13
	v_pack_b32_f16 v12, v12, v14
	;; [unrolled: 1-line block ×17, first 2 shown]
	ds_store_2addr_stride64_b32 v100, v15, v11 offset1:4
	ds_store_2addr_stride64_b32 v100, v12, v17 offset0:8 offset1:12
	ds_store_2addr_stride64_b32 v100, v13, v9 offset0:16 offset1:20
	ds_store_2addr_stride64_b32 v101, v16, v14 offset1:4
	ds_store_2addr_stride64_b32 v101, v31, v18 offset0:8 offset1:12
	ds_store_2addr_stride64_b32 v101, v32, v10 offset0:16 offset1:20
	;; [unrolled: 3-line block ×4, first 2 shown]
	global_wb scope:SCOPE_SE
	s_wait_dscnt 0x0
	s_barrier_signal -1
	s_barrier_wait -1
	global_inv scope:SCOPE_SE
	s_clause 0x5
	global_load_b128 v[17:20], v[27:28], off offset:6112
	global_load_b96 v[33:35], v[27:28], off offset:6128
	global_load_b128 v[13:16], v[27:28], off offset:20448
	global_load_b96 v[30:32], v[27:28], off offset:20464
	;; [unrolled: 2-line block ×3, first 2 shown]
	ds_load_2addr_stride64_b32 v[139:140], v53 offset0:48 offset1:56
	ds_load_2addr_stride64_b32 v[141:142], v53 offset0:64 offset1:72
	;; [unrolled: 1-line block ×10, first 2 shown]
	ds_load_2addr_stride64_b32 v[159:160], v53 offset1:8
	ds_load_2addr_stride64_b32 v[161:162], v53 offset0:16 offset1:24
	s_wait_dscnt 0xb
	v_lshrrev_b32_e32 v163, 16, v139
	s_wait_dscnt 0xa
	v_lshrrev_b32_e32 v164, 16, v142
	;; [unrolled: 2-line block ×6, first 2 shown]
	v_lshrrev_b32_e32 v169, 16, v140
	s_wait_dscnt 0x5
	v_lshrrev_b32_e32 v170, 16, v151
	v_lshrrev_b32_e32 v171, 16, v144
	s_wait_dscnt 0x4
	v_lshrrev_b32_e32 v172, 16, v153
	v_lshrrev_b32_e32 v173, 16, v148
	;; [unrolled: 1-line block ×7, first 2 shown]
	s_wait_dscnt 0x3
	v_lshrrev_b32_e32 v179, 16, v156
	s_wait_dscnt 0x2
	v_lshrrev_b32_e32 v180, 16, v157
	v_lshrrev_b32_e32 v181, 16, v155
	;; [unrolled: 1-line block ×3, first 2 shown]
	s_wait_dscnt 0x0
	v_lshrrev_b32_e32 v184, 16, v162
	v_lshrrev_b32_e32 v183, 16, v159
	;; [unrolled: 1-line block ×4, first 2 shown]
	s_wait_loadcnt 0x5
	v_lshrrev_b32_e32 v137, 16, v18
	v_lshrrev_b32_e32 v135, 16, v20
	s_wait_loadcnt 0x4
	v_lshrrev_b32_e32 v132, 16, v34
	v_lshrrev_b32_e32 v136, 16, v19
	v_lshrrev_b32_e32 v134, 16, v33
	s_wait_loadcnt 0x3
	v_lshrrev_b32_e32 v131, 16, v13
	v_lshrrev_b32_e32 v130, 16, v14
	v_lshrrev_b32_e32 v129, 16, v15
	v_lshrrev_b32_e32 v128, 16, v16
	s_wait_loadcnt 0x2
	v_lshrrev_b32_e32 v127, 16, v30
	v_lshrrev_b32_e32 v126, 16, v31
	s_wait_loadcnt 0x1
	v_lshrrev_b32_e32 v124, 16, v9
	v_lshrrev_b32_e32 v123, 16, v10
	;; [unrolled: 1-line block ×4, first 2 shown]
	s_wait_loadcnt 0x0
	v_lshrrev_b32_e32 v120, 16, v27
	v_mul_f16_e64 v187, v163, v137
	v_mul_f16_e64 v191, v165, v135
	;; [unrolled: 1-line block ×3, first 2 shown]
	v_lshrrev_b32_e32 v133, 16, v35
	v_lshrrev_b32_e32 v125, 16, v32
	;; [unrolled: 1-line block ×5, first 2 shown]
	v_mul_f16_e64 v188, v139, v137
	v_mul_f16_e64 v189, v164, v136
	;; [unrolled: 1-line block ×14, first 2 shown]
	v_fma_f16 v139, v139, v18, -v187
	v_mul_f16_e64 v187, v176, v122
	v_fma_f16 v143, v143, v20, -v191
	v_mul_f16_e64 v191, v177, v121
	;; [unrolled: 2-line block ×3, first 2 shown]
	v_mul_f16_e64 v194, v146, v134
	v_mul_f16_e64 v198, v149, v131
	;; [unrolled: 1-line block ×7, first 2 shown]
	v_fma_f16 v140, v140, v14, -v199
	v_mul_f16_e64 v199, v141, v123
	v_fma_f16 v144, v144, v16, -v203
	v_mul_f16_e64 v203, v152, v122
	v_fma_f16 v148, v148, v31, -v205
	v_mul_f16_e64 v205, v145, v121
	v_fma_f16 v149, v149, v13, -v197
	v_fma_f16 v150, v150, v9, -v207
	v_mul_f16_e64 v197, v153, v127
	v_mul_f16_e64 v207, v154, v120
	v_fma_f16 v142, v142, v19, -v189
	v_fma_f16 v141, v141, v10, -v209
	v_mul_f16_e64 v189, v156, v133
	v_mul_f16_e64 v209, v179, v133
	;; [unrolled: 4-line block ×5, first 2 shown]
	v_fmac_f16_e64 v188, v163, v18
	v_mul_f16_e64 v163, v162, v138
	v_fmac_f16_e64 v190, v164, v19
	v_mul_f16_e64 v164, v184, v138
	v_fmac_f16_e64 v192, v165, v20
	v_fmac_f16_e64 v194, v166, v33
	;; [unrolled: 1-line block ×12, first 2 shown]
	v_fma_f16 v156, v156, v35, -v209
	v_fma_f16 v155, v155, v28, -v191
	v_fmac_f16_e64 v199, v175, v10
	v_fma_f16 v157, v157, v32, -v201
	v_fma_f16 v158, v158, v29, -v195
	v_fmac_f16_e64 v203, v176, v11
	v_fmac_f16_e64 v205, v177, v12
	;; [unrolled: 1-line block ×6, first 2 shown]
	v_fma_f16 v162, v162, v17, -v164
	v_sub_f16_e64 v143, v159, v143
	v_sub_f16_e64 v144, v160, v144
	;; [unrolled: 1-line block ×24, first 2 shown]
	v_fma_f16 v159, v159, 2.0, -v143
	v_fma_f16 v160, v160, 2.0, -v144
	;; [unrolled: 1-line block ×6, first 2 shown]
	v_sub_f16_e64 v165, v143, v165
	v_add_f16_e64 v156, v167, v156
	v_sub_f16_e64 v166, v146, v166
	v_fma_f16 v139, v139, 2.0, -v147
	v_fma_f16 v163, v163, 2.0, -v167
	v_add_f16_e64 v147, v164, v147
	v_fma_f16 v162, v162, 2.0, -v146
	v_fma_f16 v178, v200, 2.0, -v169
	;; [unrolled: 1-line block ×4, first 2 shown]
	v_sub_f16_e64 v169, v144, v169
	v_add_f16_e64 v157, v171, v157
	v_sub_f16_e64 v170, v153, v170
	v_fma_f16 v140, v140, 2.0, -v148
	v_fma_f16 v180, v198, 2.0, -v171
	v_add_f16_e64 v148, v168, v148
	v_fma_f16 v149, v149, 2.0, -v153
	v_fma_f16 v181, v199, 2.0, -v173
	v_fma_f16 v152, v152, 2.0, -v158
	v_fma_f16 v182, v203, 2.0, -v174
	v_add_f16_e64 v158, v175, v158
	v_fma_f16 v141, v141, 2.0, -v155
	v_fma_f16 v184, v210, 2.0, -v175
	v_add_f16_e64 v155, v172, v155
	v_fma_f16 v150, v150, 2.0, -v154
	v_fma_f16 v183, v183, 2.0, -v164
	;; [unrolled: 1-line block ×4, first 2 shown]
	v_sub_f16_e64 v173, v145, v173
	v_sub_f16_e64 v174, v154, v174
	v_fma_f16 v167, v167, 2.0, -v156
	v_fma_f16 v187, 0x39a8, v166, v165
	v_fma_f16 v188, 0x39a8, v156, v147
	v_fma_f16 v146, v146, 2.0, -v166
	v_fma_f16 v171, v171, 2.0, -v157
	v_fma_f16 v189, 0x39a8, v170, v169
	v_fma_f16 v175, v175, 2.0, -v158
	v_fma_f16 v192, 0x39a8, v158, v155
	v_fma_f16 v143, v143, 2.0, -v165
	v_fma_f16 v164, v164, 2.0, -v147
	;; [unrolled: 1-line block ×4, first 2 shown]
	v_sub_f16_e64 v139, v159, v139
	v_sub_f16_e64 v176, v183, v176
	;; [unrolled: 1-line block ×12, first 2 shown]
	v_fma_f16 v190, 0x39a8, v157, v148
	v_fma_f16 v153, v153, 2.0, -v170
	v_fma_f16 v191, 0x39a8, v174, v173
	v_fma_f16 v154, v154, 2.0, -v174
	v_fma_f16 v144, v144, 2.0, -v169
	;; [unrolled: 1-line block ×3, first 2 shown]
	v_fmac_f16_e64 v187, 0xb9a8, v156
	v_fmac_f16_e64 v188, 0x39a8, v166
	;; [unrolled: 1-line block ×4, first 2 shown]
	v_fma_f16 v156, 0xb9a8, v146, v143
	v_fma_f16 v157, 0xb9a8, v167, v164
	;; [unrolled: 1-line block ×4, first 2 shown]
	v_fma_f16 v159, v159, 2.0, -v139
	v_fma_f16 v183, v183, 2.0, -v176
	;; [unrolled: 1-line block ×4, first 2 shown]
	v_sub_f16_e64 v177, v139, v177
	v_add_f16_e64 v142, v176, v142
	v_fma_f16 v160, v160, 2.0, -v140
	v_fma_f16 v185, v185, 2.0, -v178
	;; [unrolled: 1-line block ×4, first 2 shown]
	v_sub_f16_e64 v179, v140, v179
	v_add_f16_e64 v151, v178, v151
	v_fma_f16 v161, v161, 2.0, -v141
	v_fma_f16 v186, v186, 2.0, -v181
	;; [unrolled: 1-line block ×4, first 2 shown]
	v_fmac_f16_e64 v190, 0x39a8, v170
	v_fmac_f16_e64 v191, 0xb9a8, v158
	v_fma_f16 v158, 0xb9a8, v153, v144
	v_fma_f16 v170, 0xb9a8, v154, v145
	v_sub_f16_e64 v182, v141, v182
	v_add_f16_e64 v152, v181, v152
	v_fmac_f16_e64 v156, 0xb9a8, v167
	v_fmac_f16_e64 v157, 0x39a8, v146
	;; [unrolled: 1-line block ×4, first 2 shown]
	v_sub_f16_e64 v146, v159, v162
	v_sub_f16_e64 v153, v183, v163
	v_fma_f16 v139, v139, 2.0, -v177
	v_fma_f16 v154, v176, 2.0, -v142
	;; [unrolled: 1-line block ×3, first 2 shown]
	v_sub_f16_e64 v149, v160, v149
	v_sub_f16_e64 v163, v185, v180
	v_fma_f16 v140, v140, 2.0, -v179
	v_fma_f16 v165, v178, 2.0, -v151
	v_fma_f16 v167, v169, 2.0, -v189
	v_sub_f16_e64 v150, v161, v150
	v_sub_f16_e64 v169, v186, v184
	v_fmac_f16_e64 v158, 0xb9a8, v171
	v_fmac_f16_e64 v170, 0xb9a8, v175
	v_fma_f16 v147, v147, 2.0, -v188
	v_fma_f16 v141, v141, 2.0, -v182
	v_fma_f16 v171, v181, 2.0, -v152
	v_fma_f16 v148, v148, 2.0, -v190
	v_fma_f16 v173, v173, 2.0, -v191
	v_fma_f16 v155, v155, 2.0, -v192
	v_pack_b32_f16 v142, v177, v142
	v_pack_b32_f16 v151, v179, v151
	v_pack_b32_f16 v175, v187, v188
	v_pack_b32_f16 v152, v182, v152
	v_fma_f16 v159, v159, 2.0, -v146
	v_fma_f16 v178, v183, 2.0, -v153
	v_fma_f16 v160, v160, 2.0, -v149
	v_fma_f16 v179, v185, 2.0, -v163
	v_fma_f16 v161, v161, 2.0, -v150
	v_fma_f16 v180, v186, 2.0, -v169
	v_pack_b32_f16 v139, v139, v154
	v_pack_b32_f16 v140, v140, v165
	v_pack_b32_f16 v176, v189, v190
	v_pack_b32_f16 v177, v191, v192
	v_fma_f16 v143, v143, 2.0, -v156
	v_fma_f16 v164, v164, 2.0, -v157
	v_fma_f16 v144, v144, 2.0, -v158
	v_fma_f16 v168, v168, 2.0, -v166
	v_fma_f16 v145, v145, 2.0, -v170
	v_fma_f16 v172, v172, 2.0, -v174
	v_pack_b32_f16 v147, v162, v147
	v_pack_b32_f16 v146, v146, v153
	v_pack_b32_f16 v149, v149, v163
	v_pack_b32_f16 v141, v141, v171
	v_pack_b32_f16 v148, v167, v148
	ds_store_2addr_stride64_b32 v53, v142, v151 offset0:144 offset1:152
	v_pack_b32_f16 v142, v173, v155
	v_pack_b32_f16 v153, v156, v157
	v_pack_b32_f16 v150, v150, v169
	v_pack_b32_f16 v154, v158, v166
	v_pack_b32_f16 v151, v170, v174
	ds_store_2addr_stride64_b32 v53, v152, v175 offset0:160 offset1:168
	ds_store_2addr_stride64_b32 v53, v176, v177 offset0:176 offset1:184
	v_pack_b32_f16 v152, v159, v178
	v_pack_b32_f16 v155, v160, v179
	ds_store_2addr_stride64_b32 v53, v139, v140 offset0:48 offset1:56
	ds_store_2addr_stride64_b32 v53, v146, v149 offset0:96 offset1:104
	v_pack_b32_f16 v139, v161, v180
	v_pack_b32_f16 v143, v143, v164
	;; [unrolled: 1-line block ×4, first 2 shown]
	ds_store_2addr_stride64_b32 v53, v141, v147 offset0:64 offset1:72
	ds_store_2addr_stride64_b32 v53, v148, v142 offset0:80 offset1:88
	;; [unrolled: 1-line block ×4, first 2 shown]
	ds_store_2addr_stride64_b32 v53, v152, v155 offset1:8
	ds_store_2addr_stride64_b32 v53, v139, v143 offset0:16 offset1:24
	ds_store_2addr_stride64_b32 v53, v144, v140 offset0:32 offset1:40
	global_wb scope:SCOPE_SE
	s_wait_dscnt 0x0
	s_barrier_signal -1
	s_barrier_wait -1
	global_inv scope:SCOPE_SE
	s_clause 0x17
	global_load_b32 v139, v53, s[8:9] offset:49152
	global_load_b32 v164, v53, s[2:3] offset:2048
	;; [unrolled: 1-line block ×24, first 2 shown]
	ds_load_2addr_stride64_b32 v[140:141], v53 offset1:8
	ds_load_2addr_stride64_b32 v[142:143], v53 offset0:16 offset1:24
	ds_load_2addr_stride64_b32 v[144:145], v53 offset0:48 offset1:56
	;; [unrolled: 1-line block ×11, first 2 shown]
	s_mov_b32 s2, 0x55555555
	s_mov_b32 s3, 0x3f155555
	s_load_b64 s[8:9], s[0:1], 0x38
	s_wait_dscnt 0xb
	v_lshrrev_b32_e32 v187, 16, v140
	v_lshrrev_b32_e32 v188, 16, v141
	s_wait_dscnt 0x9
	v_lshrrev_b32_e32 v190, 16, v144
	v_lshrrev_b32_e32 v191, 16, v145
	;; [unrolled: 3-line block ×4, first 2 shown]
	v_lshrrev_b32_e32 v197, 16, v142
	v_lshrrev_b32_e32 v189, 16, v143
	s_wait_dscnt 0x5
	v_lshrrev_b32_e32 v199, 16, v153
	v_lshrrev_b32_e32 v196, 16, v151
	v_lshrrev_b32_e32 v198, 16, v152
	v_lshrrev_b32_e32 v200, 16, v150
	s_wait_dscnt 0x4
	v_lshrrev_b32_e32 v201, 16, v154
	v_lshrrev_b32_e32 v203, 16, v155
	s_wait_dscnt 0x3
	v_lshrrev_b32_e32 v204, 16, v157
	v_lshrrev_b32_e32 v205, 16, v156
	;; [unrolled: 3-line block ×3, first 2 shown]
	s_wait_loadcnt 0x16
	v_lshrrev_b32_e32 v206, 16, v164
	s_delay_alu instid0(VALU_DEP_1) | instskip(SKIP_1) | instid1(VALU_DEP_1)
	v_mul_f16_e64 v210, v188, v206
	v_lshrrev_b32_e32 v202, 16, v139
	v_mul_f16_e64 v207, v140, v202
	v_mul_f16_e64 v202, v187, v202
	s_delay_alu instid0(VALU_DEP_2) | instskip(SKIP_2) | instid1(VALU_DEP_3)
	v_fmac_f16_e64 v207, v187, v139
	s_wait_loadcnt 0x15
	v_lshrrev_b32_e32 v187, 16, v165
	v_fma_f16 v139, v140, v139, -v202
	v_mul_f16_e64 v202, v141, v206
	v_fma_f16 v141, v141, v164, -v210
	s_wait_loadcnt 0x14
	v_lshrrev_b32_e32 v206, 16, v166
	v_mul_f16_e64 v210, v144, v187
	v_mul_f16_e64 v187, v190, v187
	v_fmac_f16_e64 v202, v188, v164
	s_wait_dscnt 0x1
	v_lshrrev_b32_e32 v140, 16, v161
	v_mul_f16_e64 v188, v191, v206
	v_fmac_f16_e64 v210, v190, v165
	s_wait_loadcnt 0x13
	v_lshrrev_b32_e32 v190, 16, v167
	v_fma_f16 v144, v144, v165, -v187
	v_mul_f16_e64 v187, v145, v206
	v_fma_f16 v145, v145, v166, -v188
	s_wait_loadcnt 0x12
	v_lshrrev_b32_e32 v188, 16, v168
	v_mul_f16_e64 v206, v146, v190
	v_mul_f16_e64 v190, v192, v190
	v_fmac_f16_e64 v187, v191, v166
	v_lshrrev_b32_e32 v164, 16, v160
	v_mul_f16_e64 v191, v193, v188
	v_fmac_f16_e64 v206, v192, v167
	s_wait_loadcnt 0x11
	v_lshrrev_b32_e32 v192, 16, v169
	v_fma_f16 v146, v146, v167, -v190
	s_wait_loadcnt 0x10
	v_lshrrev_b32_e32 v167, 16, v170
	v_mul_f16_e64 v188, v147, v188
	v_fma_f16 v147, v147, v168, -v191
	v_mul_f16_e64 v191, v148, v192
	v_mul_f16_e64 v192, v194, v192
	s_wait_loadcnt 0xf
	v_lshrrev_b32_e32 v190, 16, v171
	v_fmac_f16_e64 v188, v193, v168
	s_wait_loadcnt 0xb
	v_lshrrev_b32_e32 v168, 16, v175
	v_mul_f16_e64 v193, v195, v167
	v_mul_f16_e64 v167, v149, v167
	v_fmac_f16_e64 v191, v194, v169
	v_fma_f16 v148, v148, v169, -v192
	v_lshrrev_b32_e32 v169, 16, v174
	v_lshrrev_b32_e32 v194, 16, v172
	v_fmac_f16_e64 v167, v195, v170
	v_mul_f16_e64 v195, v197, v168
	v_mul_f16_e64 v168, v142, v168
	v_fma_f16 v149, v149, v170, -v193
	s_wait_loadcnt 0xa
	v_lshrrev_b32_e32 v192, 16, v176
	v_mul_f16_e64 v193, v143, v190
	v_mul_f16_e64 v190, v189, v190
	v_lshrrev_b32_e32 v170, 16, v173
	v_fmac_f16_e64 v168, v197, v175
	v_mul_f16_e64 v197, v199, v169
	v_mul_f16_e64 v169, v153, v169
	v_fmac_f16_e64 v193, v189, v171
	s_wait_loadcnt 0x9
	v_lshrrev_b32_e32 v189, 16, v177
	v_fma_f16 v143, v143, v171, -v190
	s_wait_loadcnt 0x6
	v_lshrrev_b32_e32 v171, 16, v180
	v_fma_f16 v142, v142, v175, -v195
	v_mul_f16_e64 v195, v152, v194
	v_mul_f16_e64 v194, v198, v194
	v_fma_f16 v153, v153, v174, -v197
	v_mul_f16_e64 v197, v151, v192
	v_mul_f16_e64 v192, v196, v192
	v_fmac_f16_e64 v169, v199, v174
	v_mul_f16_e64 v199, v200, v170
	s_wait_dscnt 0x0
	v_lshrrev_b32_e32 v165, 16, v162
	v_lshrrev_b32_e32 v166, 16, v163
	;; [unrolled: 1-line block ×4, first 2 shown]
	v_fmac_f16_e64 v195, v198, v172
	s_wait_loadcnt 0x5
	v_lshrrev_b32_e32 v198, 16, v181
	v_fma_f16 v152, v152, v172, -v194
	s_wait_loadcnt 0x1
	v_lshrrev_b32_e32 v172, 16, v185
	v_lshrrev_b32_e32 v194, 16, v184
	;; [unrolled: 1-line block ×3, first 2 shown]
	v_fmac_f16_e64 v197, v196, v176
	s_wait_loadcnt 0x0
	v_lshrrev_b32_e32 v196, 16, v186
	v_fma_f16 v151, v151, v176, -v192
	v_lshrrev_b32_e32 v176, 16, v182
	v_mul_f16_e64 v170, v150, v170
	v_fma_f16 v150, v150, v173, -v199
	v_mul_f16_e64 v192, v154, v189
	v_mul_f16_e64 v189, v201, v189
	;; [unrolled: 1-line block ×4, first 2 shown]
	v_fmac_f16_e64 v170, v200, v173
	v_mul_f16_e64 v173, v157, v190
	v_mul_f16_e64 v190, v204, v190
	;; [unrolled: 1-line block ×4, first 2 shown]
	v_fmac_f16_e64 v192, v201, v177
	v_mul_f16_e64 v201, v158, v198
	v_mul_f16_e64 v198, v208, v198
	v_fma_f16 v154, v154, v177, -v189
	v_mul_f16_e64 v177, v209, v172
	v_mul_f16_e64 v172, v159, v172
	v_fma_f16 v155, v155, v180, -v199
	v_mul_f16_e64 v189, v161, v194
	v_mul_f16_e64 v194, v140, v194
	v_mul_f16_e64 v199, v164, v174
	v_mul_f16_e64 v174, v160, v174
	v_fmac_f16_e64 v171, v203, v180
	v_mul_f16_e64 v180, v162, v196
	v_mul_f16_e64 v196, v165, v196
	v_mul_f16_e64 v203, v166, v176
	v_mul_f16_e64 v176, v163, v176
	v_fmac_f16_e64 v173, v204, v179
	v_fma_f16 v157, v157, v179, -v190
	v_fma_f16 v156, v156, v178, -v200
	v_fmac_f16_e64 v175, v205, v178
	v_fmac_f16_e64 v201, v208, v181
	v_fma_f16 v158, v158, v181, -v198
	v_fma_f16 v159, v159, v185, -v177
	v_fmac_f16_e64 v172, v209, v185
	;; [unrolled: 4-line block ×4, first 2 shown]
	v_pack_b32_f16 v139, v139, v207
	v_pack_b32_f16 v141, v141, v202
	;; [unrolled: 1-line block ×24, first 2 shown]
	ds_store_2addr_stride64_b32 v53, v139, v141 offset1:8
	ds_store_2addr_stride64_b32 v53, v144, v145 offset0:48 offset1:56
	ds_store_2addr_stride64_b32 v53, v146, v147 offset0:96 offset1:104
	;; [unrolled: 1-line block ×11, first 2 shown]
	global_wb scope:SCOPE_SE
	s_wait_dscnt 0x0
	s_wait_kmcnt 0x0
	s_barrier_signal -1
	s_barrier_wait -1
	global_inv scope:SCOPE_SE
	ds_load_2addr_stride64_b32 v[139:140], v53 offset1:8
	ds_load_2addr_stride64_b32 v[141:142], v53 offset0:32 offset1:40
	ds_load_2addr_stride64_b32 v[143:144], v53 offset0:48 offset1:56
	;; [unrolled: 1-line block ×11, first 2 shown]
	global_wb scope:SCOPE_SE
	s_wait_dscnt 0x0
	s_barrier_signal -1
	s_barrier_wait -1
	global_inv scope:SCOPE_SE
	v_lshrrev_b32_e32 v163, 16, v140
	v_lshrrev_b32_e32 v164, 16, v141
	;; [unrolled: 1-line block ×16, first 2 shown]
	v_pk_add_f16 v147, v139, v147 neg_lo:[0,1] neg_hi:[0,1]
	v_pk_add_f16 v151, v143, v151 neg_lo:[0,1] neg_hi:[0,1]
	;; [unrolled: 1-line block ×4, first 2 shown]
	v_sub_f16_e64 v148, v140, v148
	v_sub_f16_e64 v152, v144, v152
	;; [unrolled: 1-line block ×16, first 2 shown]
	v_pk_fma_f16 v139, v139, 2.0, v147 op_sel_hi:[1,0,1] neg_lo:[0,0,1] neg_hi:[0,0,1]
	v_pk_fma_f16 v143, v143, 2.0, v151 op_sel_hi:[1,0,1] neg_lo:[0,0,1] neg_hi:[0,0,1]
	v_pk_fma_f16 v156, v156, 2.0, v160 op_sel_hi:[1,0,1] neg_lo:[0,0,1] neg_hi:[0,0,1]
	v_pk_fma_f16 v158, v158, 2.0, v162 op_sel_hi:[1,0,1] neg_lo:[0,0,1] neg_hi:[0,0,1]
	v_lshrrev_b32_e32 v179, 16, v151
	v_lshrrev_b32_e32 v181, 16, v162
	;; [unrolled: 1-line block ×3, first 2 shown]
	v_fma_f16 v140, v140, 2.0, -v148
	v_fma_f16 v144, v144, 2.0, -v152
	;; [unrolled: 1-line block ×4, first 2 shown]
	v_lshrrev_b32_e32 v180, 16, v147
	v_fma_f16 v155, v155, 2.0, -v159
	v_fma_f16 v157, v157, 2.0, -v161
	;; [unrolled: 1-line block ×8, first 2 shown]
	v_add_f16_e64 v169, v148, v169
	v_sub_f16_e64 v152, v167, v152
	v_add_f16_e64 v170, v149, v170
	v_sub_f16_e64 v153, v168, v153
	v_fma_f16 v173, v173, 2.0, -v177
	v_fma_f16 v174, v174, 2.0, -v178
	v_add_f16_e64 v177, v159, v177
	v_sub_f16_e64 v161, v175, v161
	v_add_f16_e64 v178, v150, v178
	v_sub_f16_e64 v154, v176, v154
	v_pk_add_f16 v143, v139, v143 neg_lo:[0,1] neg_hi:[0,1]
	v_add_f16_e64 v179, v147, v179
	v_pk_add_f16 v158, v156, v158 neg_lo:[0,1] neg_hi:[0,1]
	v_add_f16_e64 v181, v160, v181
	v_sub_f16_e64 v162, v182, v162
	v_sub_f16_e64 v144, v140, v144
	;; [unrolled: 1-line block ×3, first 2 shown]
	v_fma_f16 v171, v171, 2.0, -v175
	v_fma_f16 v172, v172, 2.0, -v176
	v_sub_f16_e64 v151, v180, v151
	v_sub_f16_e64 v157, v155, v157
	;; [unrolled: 1-line block ×4, first 2 shown]
	v_fma_f16 v148, v148, 2.0, -v169
	v_fma_f16 v167, v167, 2.0, -v152
	v_sub_f16_e64 v166, v164, v166
	v_fma_f16 v149, v149, 2.0, -v170
	v_fma_f16 v168, v168, 2.0, -v153
	v_fma_f16 v183, 0x39a8, v170, v169
	v_fma_f16 v184, 0x39a8, v153, v152
	;; [unrolled: 1-line block ×4, first 2 shown]
	v_pk_fma_f16 v187, v139, 2.0, v143 op_sel_hi:[1,0,1] neg_lo:[0,0,1] neg_hi:[0,0,1]
	v_fma_f16 v147, v147, 2.0, -v179
	v_pk_fma_f16 v139, v156, 2.0, v158 op_sel_hi:[1,0,1] neg_lo:[0,0,1] neg_hi:[0,0,1]
	v_fma_f16 v156, v160, 2.0, -v181
	v_fma_f16 v160, v182, 2.0, -v162
	v_fma_f16 v182, 0x39a8, v181, v179
	v_fma_f16 v140, v140, 2.0, -v144
	v_fma_f16 v141, v141, 2.0, -v145
	v_sub_f16_e64 v173, v171, v173
	v_fma_f16 v159, v159, 2.0, -v177
	v_fma_f16 v175, v175, 2.0, -v161
	v_sub_f16_e64 v174, v172, v174
	v_fma_f16 v150, v150, 2.0, -v178
	v_fma_f16 v176, v176, 2.0, -v154
	;; [unrolled: 1-line block ×3, first 2 shown]
	v_fma_f16 v188, 0x39a8, v162, v151
	v_lshrrev_b32_e32 v189, 16, v158
	v_lshrrev_b32_e32 v190, 16, v143
	v_fma_f16 v155, v155, 2.0, -v157
	v_fma_f16 v142, v142, 2.0, -v146
	v_fmac_f16_e64 v183, 0x39a8, v153
	v_fmac_f16_e64 v184, 0xb9a8, v170
	;; [unrolled: 1-line block ×3, first 2 shown]
	v_fma_f16 v170, 0xb9a8, v149, v148
	v_fmac_f16_e64 v186, 0xb9a8, v178
	v_fma_f16 v178, 0xb9a8, v168, v167
	v_fmac_f16_e64 v182, 0x39a8, v162
	v_fma_f16 v162, 0xb9a8, v156, v147
	v_fma_f16 v153, v163, 2.0, -v165
	v_fma_f16 v154, v164, 2.0, -v166
	v_fma_f16 v191, 0xb9a8, v150, v159
	v_fmac_f16_e64 v188, 0xb9a8, v181
	v_fma_f16 v181, 0xb9a8, v176, v175
	v_fma_f16 v192, 0xb9a8, v160, v180
	v_sub_f16_e64 v163, v140, v141
	v_add_f16_e64 v164, v144, v166
	v_fma_f16 v166, v171, 2.0, -v173
	v_fma_f16 v141, v172, 2.0, -v174
	v_sub_f16_e64 v145, v165, v145
	v_add_f16_e64 v172, v157, v174
	v_sub_f16_e64 v174, v173, v146
	v_add_f16_e64 v146, v143, v189
	v_sub_f16_e64 v158, v190, v158
	v_sub_f16_e64 v171, v155, v142
	v_fmac_f16_e64 v170, 0x39a8, v168
	v_fmac_f16_e64 v178, 0xb9a8, v149
	;; [unrolled: 1-line block ×3, first 2 shown]
	v_sub_f16_e64 v160, v153, v154
	v_fmac_f16_e64 v191, 0x39a8, v176
	v_fmac_f16_e64 v181, 0xb9a8, v150
	;; [unrolled: 1-line block ×3, first 2 shown]
	v_sub_f16_e64 v176, v166, v141
	v_fma_f16 v168, v140, 2.0, -v163
	v_fma_f16 v144, v144, 2.0, -v164
	;; [unrolled: 1-line block ×14, first 2 shown]
	v_pack_b32_f16 v145, v164, v145
	v_pack_b32_f16 v149, v172, v174
	v_fma_f16 v164, v153, 2.0, -v160
	v_fma_f16 v172, v148, 2.0, -v170
	;; [unrolled: 1-line block ×3, first 2 shown]
	v_pk_add_f16 v139, v187, v139 neg_lo:[0,1] neg_hi:[0,1]
	v_fma_f16 v166, v166, 2.0, -v176
	v_fma_f16 v159, v159, 2.0, -v191
	v_fma_f16 v174, v175, 2.0, -v181
	v_fma_f16 v175, v147, 2.0, -v162
	v_fma_f16 v180, v180, 2.0, -v192
	v_pack_b32_f16 v141, v146, v158
	v_pack_b32_f16 v146, v183, v184
	v_pack_b32_f16 v153, v140, v143
	v_pack_b32_f16 v157, v144, v165
	v_pack_b32_f16 v144, v170, v178
	v_pack_b32_f16 v143, v163, v160
	v_pack_b32_f16 v150, v185, v186
	v_pack_b32_f16 v148, v191, v181
	v_pack_b32_f16 v147, v171, v176
	v_pack_b32_f16 v142, v182, v188
	v_pack_b32_f16 v140, v162, v192
	v_pack_b32_f16 v154, v156, v154
	v_pack_b32_f16 v158, v169, v152
	v_pack_b32_f16 v162, v177, v161
	v_pack_b32_f16 v161, v155, v173
	v_pack_b32_f16 v156, v172, v167
	v_pack_b32_f16 v155, v168, v164
	v_pk_fma_f16 v151, v187, 2.0, v139 op_sel_hi:[1,0,1] neg_lo:[0,0,1] neg_hi:[0,0,1]
	v_pack_b32_f16 v152, v175, v180
	v_pack_b32_f16 v160, v159, v174
	;; [unrolled: 1-line block ×3, first 2 shown]
	ds_store_b128 v91, v[143:146] offset:16
	ds_store_b128 v38, v[147:150] offset:16
	;; [unrolled: 1-line block ×4, first 2 shown]
	ds_store_b128 v37, v[151:154]
	ds_store_b128 v37, v[159:162] offset:32768
	global_wb scope:SCOPE_SE
	s_wait_dscnt 0x0
	s_barrier_signal -1
	s_barrier_wait -1
	global_inv scope:SCOPE_SE
	ds_load_2addr_stride64_b32 v[139:140], v53 offset1:8
	ds_load_2addr_stride64_b32 v[37:38], v53 offset0:16 offset1:24
	ds_load_2addr_stride64_b32 v[141:142], v53 offset0:48 offset1:56
	;; [unrolled: 1-line block ×11, first 2 shown]
	global_wb scope:SCOPE_SE
	s_wait_dscnt 0x0
	s_barrier_signal -1
	s_barrier_wait -1
	global_inv scope:SCOPE_SE
	v_lshrrev_b32_e32 v91, 16, v139
	v_lshrrev_b32_e32 v161, 16, v38
	;; [unrolled: 1-line block ×9, first 2 shown]
	v_mul_f16_e64 v175, v110, v38
	v_mul_f16_e64 v176, v112, v141
	;; [unrolled: 1-line block ×5, first 2 shown]
	v_lshrrev_b32_e32 v188, 16, v156
	v_mul_f16_e64 v197, v108, v148
	v_lshrrev_b32_e32 v169, 16, v153
	v_lshrrev_b32_e32 v170, 16, v146
	;; [unrolled: 1-line block ×6, first 2 shown]
	v_mul_f16_e64 v177, v111, v144
	v_mul_f16_e64 v179, v107, v149
	;; [unrolled: 1-line block ×3, first 2 shown]
	v_lshrrev_b32_e32 v193, 16, v147
	v_mul_f16_e64 v198, v106, v156
	v_mul_f16_e64 v205, v112, v162
	;; [unrolled: 1-line block ×5, first 2 shown]
	v_fma_f16 v162, v2, v162, -v176
	v_mul_f16_e64 v176, v107, v166
	v_fma_f16 v164, v4, v164, -v178
	v_mul_f16_e64 v178, v110, v167
	;; [unrolled: 2-line block ×3, first 2 shown]
	v_fma_f16 v167, v1, v167, -v186
	v_fma_f16 v168, v2, v168, -v180
	;; [unrolled: 1-line block ×3, first 2 shown]
	v_mul_f16_e64 v165, v108, v165
	v_mul_f16_e64 v186, v106, v188
	;; [unrolled: 1-line block ×7, first 2 shown]
	v_lshrrev_b32_e32 v190, 16, v157
	v_lshrrev_b32_e32 v195, 16, v155
	v_mul_f16_e64 v199, v109, v147
	v_mul_f16_e64 v208, v109, v170
	v_mul_f16_e64 v112, v112, v173
	v_mul_f16_e64 v210, v111, v169
	v_mul_f16_e64 v111, v111, v174
	v_fma_f16 v163, v3, v163, -v177
	v_mul_f16_e64 v177, v107, v171
	v_mul_f16_e64 v110, v110, v172
	v_fma_f16 v166, v22, v166, -v179
	v_fma_f16 v171, v22, v171, -v185
	v_mul_f16_e64 v109, v109, v193
	v_fma_f16 v185, v23, v188, -v198
	v_fmac_f16_e64 v205, v2, v141
	v_fmac_f16_e64 v207, v4, v145
	v_fmac_f16_e64 v209, v3, v144
	v_fmac_f16_e64 v176, v22, v149
	v_fmac_f16_e64 v161, v1, v38
	v_fmac_f16_e64 v165, v21, v148
	v_fmac_f16_e64 v186, v23, v156
	v_lshrrev_b32_e32 v191, 16, v159
	v_lshrrev_b32_e32 v194, 16, v158
	;; [unrolled: 1-line block ×3, first 2 shown]
	v_mul_f16_e64 v200, v108, v157
	v_mul_f16_e64 v202, v107, v155
	;; [unrolled: 1-line block ×3, first 2 shown]
	v_fma_f16 v169, v3, v169, -v181
	v_fma_f16 v170, v4, v170, -v182
	;; [unrolled: 1-line block ×6, first 2 shown]
	v_mul_f16_e64 v182, v108, v190
	v_mul_f16_e64 v107, v107, v195
	v_fmac_f16_e64 v206, v2, v142
	v_fmac_f16_e64 v208, v4, v146
	;; [unrolled: 1-line block ×8, first 2 shown]
	v_sub_f16_e64 v1, v91, v164
	v_sub_f16_e64 v2, v162, v166
	;; [unrolled: 1-line block ×8, first 2 shown]
	v_lshrrev_b32_e32 v189, 16, v140
	v_mul_f16_e64 v201, v108, v158
	v_mul_f16_e64 v204, v106, v160
	v_fma_f16 v181, v21, v190, -v200
	v_mul_f16_e64 v108, v108, v194
	v_fma_f16 v187, v23, v191, -v203
	v_mul_f16_e64 v188, v106, v191
	v_mul_f16_e64 v106, v106, v196
	v_fmac_f16_e64 v182, v21, v157
	v_fmac_f16_e64 v107, v22, v155
	v_fma_f16 v143, v162, 2.0, -v2
	v_fma_f16 v147, v163, 2.0, -v4
	;; [unrolled: 1-line block ×4, first 2 shown]
	v_add_f16_e64 v2, v141, v2
	v_sub_f16_e64 v142, v1, v142
	v_add_f16_e64 v4, v144, v4
	v_sub_f16_e64 v146, v3, v146
	v_fma_f16 v183, v21, v194, -v201
	v_fma_f16 v184, v22, v195, -v202
	;; [unrolled: 1-line block ×3, first 2 shown]
	v_fmac_f16_e64 v177, v22, v150
	v_fmac_f16_e64 v188, v23, v159
	;; [unrolled: 1-line block ×4, first 2 shown]
	v_sub_f16_e64 v21, v189, v170
	v_sub_f16_e64 v22, v168, v171
	;; [unrolled: 1-line block ×4, first 2 shown]
	v_fma_f16 v91, v91, 2.0, -v1
	v_fma_f16 v145, v175, 2.0, -v3
	;; [unrolled: 1-line block ×4, first 2 shown]
	v_fma_f16 v160, 0x39a8, v4, v2
	v_sub_f16_e64 v148, v140, v208
	v_fma_f16 v149, v189, 2.0, -v21
	v_sub_f16_e64 v150, v206, v177
	v_fma_f16 v151, v168, 2.0, -v22
	;; [unrolled: 2-line block ×4, first 2 shown]
	v_fma_f16 v156, v161, 2.0, -v144
	v_fma_f16 v141, v141, 2.0, -v2
	;; [unrolled: 1-line block ×3, first 2 shown]
	v_fma_f16 v161, 0x39a8, v146, v142
	v_fma_f16 v163, 0xb9a8, v3, v1
	v_fmac_f16_e64 v160, 0x39a8, v146
	v_fma_f16 v146, v169, 2.0, -v38
	v_sub_f16_e64 v147, v145, v147
	v_fma_f16 v158, v206, 2.0, -v150
	v_fma_f16 v159, v178, 2.0, -v152
	v_sub_f16_e64 v151, v149, v151
	v_sub_f16_e64 v155, v139, v155
	v_sub_f16_e64 v157, v156, v157
	v_fma_f16 v162, 0xb9a8, v144, v141
	v_fmac_f16_e64 v163, 0xb9a8, v144
	v_fma_f16 v144, v210, 2.0, -v154
	v_add_f16_e64 v22, v148, v22
	v_sub_f16_e64 v150, v21, v150
	v_add_f16_e64 v38, v152, v38
	v_sub_f16_e64 v154, v23, v154
	v_sub_f16_e64 v146, v153, v146
	v_fma_f16 v140, v140, 2.0, -v148
	v_fma_f16 v145, v145, 2.0, -v147
	;; [unrolled: 1-line block ×4, first 2 shown]
	v_add_f16_e64 v147, v155, v147
	v_fma_f16 v149, v149, 2.0, -v151
	v_fma_f16 v148, v148, 2.0, -v22
	v_sub_f16_e64 v144, v159, v144
	v_fma_f16 v152, v152, 2.0, -v38
	v_fma_f16 v21, v21, 2.0, -v150
	;; [unrolled: 1-line block ×4, first 2 shown]
	v_fmac_f16_e64 v161, 0xb9a8, v4
	v_sub_f16_e64 v4, v139, v156
	v_fmac_f16_e64 v162, 0x39a8, v3
	v_fma_f16 v3, v155, 2.0, -v147
	v_fma_f16 v155, v159, 2.0, -v144
	v_fma_f16 v156, 0xb9a8, v152, v148
	v_fma_f16 v159, 0xb9a8, v23, v21
	v_sub_f16_e64 v153, v149, v153
	v_lshrrev_b32_e32 v192, 16, v37
	v_sub_f16_e32 v109, v37, v109
	v_fmac_f16_e64 v156, 0x39a8, v23
	v_fma_f16 v23, v142, 2.0, -v161
	v_fmac_f16_e64 v159, 0xb9a8, v152
	v_fma_f16 v142, v149, 2.0, -v153
	v_fma_f16 v149, 0x39a8, v38, v22
	v_fma_f16 v152, 0x39a8, v154, v150
	v_sub_f16_e32 v107, v112, v107
	v_sub_f16_e32 v108, v110, v108
	v_sub_f16_e64 v165, v172, v183
	v_fmac_f16_e64 v149, 0x39a8, v154
	v_fmac_f16_e64 v152, 0xb9a8, v38
	v_sub_f16_e64 v38, v192, v179
	v_sub_f16_e64 v154, v173, v184
	v_sub_f16_e32 v106, v111, v106
	v_sub_f16_e64 v168, v174, v190
	v_sub_f16_e64 v143, v91, v143
	v_fma_f16 v112, v112, 2.0, -v107
	v_fma_f16 v166, v173, 2.0, -v154
	;; [unrolled: 1-line block ×3, first 2 shown]
	v_add_f16_e64 v154, v109, v154
	v_fma_f16 v169, v174, 2.0, -v168
	v_sub_f16_e32 v107, v38, v107
	v_add_f16_e64 v168, v108, v168
	v_sub_f16_e64 v106, v165, v106
	v_fma_f16 v91, v91, 2.0, -v143
	v_fma_f16 v37, v37, 2.0, -v109
	;; [unrolled: 1-line block ×5, first 2 shown]
	v_sub_f16_e64 v158, v140, v158
	v_fma_f16 v109, v109, 2.0, -v154
	v_fma_f16 v38, v38, 2.0, -v107
	;; [unrolled: 1-line block ×4, first 2 shown]
	v_sub_f16_e64 v145, v91, v145
	v_sub_f16_e64 v157, v143, v157
	v_sub_f16_e32 v112, v37, v112
	v_sub_f16_e64 v166, v164, v166
	v_sub_f16_e32 v111, v110, v111
	v_sub_f16_e64 v169, v167, v169
	v_fma_f16 v140, v140, 2.0, -v158
	v_fma_f16 v170, 0xb9a8, v108, v109
	v_fma_f16 v171, 0xb9a8, v165, v38
	v_fma_f16 v91, v91, 2.0, -v145
	v_fma_f16 v139, v139, 2.0, -v4
	;; [unrolled: 1-line block ×10, first 2 shown]
	v_sub_f16_e64 v155, v140, v155
	v_fmac_f16_e64 v170, 0x39a8, v165
	v_fmac_f16_e64 v171, 0xb9a8, v108
	v_fma_f16 v108, 0x39a8, v168, v154
	v_fma_f16 v165, 0x39a8, v106, v107
	v_add_f16_e64 v146, v158, v146
	v_sub_f16_e64 v144, v151, v144
	v_pack_b32_f16 v91, v139, v91
	v_pack_b32_f16 v1, v141, v1
	v_sub_f16_e32 v110, v37, v110
	v_sub_f16_e64 v167, v164, v167
	v_pack_b32_f16 v3, v3, v143
	v_pack_b32_f16 v2, v2, v23
	v_fma_f16 v140, v140, 2.0, -v155
	v_fma_f16 v148, v148, 2.0, -v156
	;; [unrolled: 1-line block ×3, first 2 shown]
	v_add_f16_e64 v169, v112, v169
	v_sub_f16_e64 v111, v166, v111
	v_fmac_f16_e32 v108, 0x39a8, v106
	v_fmac_f16_e64 v165, 0xb9a8, v168
	v_fma_f16 v158, v158, 2.0, -v146
	v_fma_f16 v151, v151, 2.0, -v144
	;; [unrolled: 1-line block ×4, first 2 shown]
	ds_store_2addr_b32 v90, v91, v1 offset1:8
	ds_store_2addr_b32 v90, v3, v2 offset0:16 offset1:24
	v_pack_b32_f16 v1, v4, v145
	v_pack_b32_f16 v2, v162, v163
	v_fma_f16 v37, v37, 2.0, -v110
	v_fma_f16 v164, v164, 2.0, -v167
	v_fma_f16 v109, v109, 2.0, -v170
	v_fma_f16 v38, v38, 2.0, -v171
	v_pack_b32_f16 v3, v147, v157
	v_pack_b32_f16 v4, v160, v161
	v_fma_f16 v106, v112, 2.0, -v169
	v_fma_f16 v112, v166, 2.0, -v111
	;; [unrolled: 1-line block ×4, first 2 shown]
	v_pack_b32_f16 v23, v140, v142
	v_pack_b32_f16 v21, v148, v21
	;; [unrolled: 1-line block ×6, first 2 shown]
	ds_store_2addr_b32 v90, v1, v2 offset0:32 offset1:40
	ds_store_2addr_b32 v90, v3, v4 offset0:48 offset1:56
	ds_store_2addr_b32 v89, v23, v21 offset1:8
	ds_store_2addr_b32 v89, v91, v22 offset0:16 offset1:24
	ds_store_2addr_b32 v89, v139, v140 offset0:32 offset1:40
	v_pack_b32_f16 v1, v146, v144
	v_pack_b32_f16 v2, v149, v152
	;; [unrolled: 1-line block ×10, first 2 shown]
	ds_store_2addr_b32 v89, v1, v2 offset0:48 offset1:56
	ds_store_2addr_b32 v88, v3, v4 offset1:8
	ds_store_2addr_b32 v88, v21, v22 offset0:16 offset1:24
	ds_store_2addr_b32 v88, v23, v37 offset0:32 offset1:40
	;; [unrolled: 1-line block ×3, first 2 shown]
	global_wb scope:SCOPE_SE
	s_wait_dscnt 0x0
	s_barrier_signal -1
	s_barrier_wait -1
	global_inv scope:SCOPE_SE
	ds_load_2addr_stride64_b32 v[1:2], v53 offset1:8
	ds_load_2addr_stride64_b32 v[3:4], v53 offset0:48 offset1:56
	ds_load_2addr_stride64_b32 v[21:22], v53 offset0:96 offset1:104
	;; [unrolled: 1-line block ×11, first 2 shown]
	global_wb scope:SCOPE_SE
	s_wait_dscnt 0x0
	s_barrier_signal -1
	s_barrier_wait -1
	global_inv scope:SCOPE_SE
	v_lshrrev_b32_e32 v147, 16, v2
	v_lshrrev_b32_e32 v112, 16, v3
	;; [unrolled: 1-line block ×5, first 2 shown]
	v_mul_f16_e64 v165, v105, v3
	v_mul_f16_e64 v164, v105, v112
	v_lshrrev_b32_e32 v149, 16, v22
	v_lshrrev_b32_e32 v150, 16, v38
	v_mul_f16_e64 v169, v104, v146
	v_mul_f16_e64 v170, v104, v37
	v_fmac_f16_e64 v164, v24, v3
	v_fma_f16 v3, v24, v112, -v165
	v_mul_f16_e64 v112, v103, v145
	v_mul_f16_e64 v165, v103, v21
	v_mul_f16_e64 v171, v105, v148
	v_lshrrev_b32_e32 v152, 16, v90
	v_lshrrev_b32_e32 v153, 16, v106
	v_fmac_f16_e32 v112, v25, v21
	v_fma_f16 v21, v25, v145, -v165
	v_fmac_f16_e64 v169, v26, v37
	v_fma_f16 v37, v26, v146, -v170
	v_fmac_f16_e64 v171, v24, v4
	v_mul_f16_e32 v4, v105, v4
	v_mul_f16_e64 v145, v103, v149
	v_mul_f16_e64 v146, v103, v22
	;; [unrolled: 1-line block ×4, first 2 shown]
	v_lshrrev_b32_e32 v154, 16, v108
	v_lshrrev_b32_e32 v156, 16, v91
	;; [unrolled: 1-line block ×3, first 2 shown]
	v_fma_f16 v4, v24, v148, -v4
	v_fmac_f16_e64 v145, v25, v22
	v_fma_f16 v22, v25, v149, -v146
	v_fmac_f16_e64 v165, v26, v38
	v_fma_f16 v38, v26, v150, -v170
	v_mul_f16_e64 v146, v105, v152
	v_mul_f16_e64 v148, v105, v90
	v_mul_f16_e64 v149, v103, v153
	v_mul_f16_e64 v150, v103, v106
	v_lshrrev_b32_e32 v158, 16, v109
	v_mul_f16_e64 v170, v104, v154
	v_fmac_f16_e64 v146, v24, v90
	v_fma_f16 v90, v24, v152, -v148
	v_fmac_f16_e64 v149, v25, v106
	v_fma_f16 v106, v25, v153, -v150
	v_mul_f16_e64 v148, v105, v156
	v_mul_f16_e64 v150, v105, v91
	;; [unrolled: 1-line block ×4, first 2 shown]
	v_lshrrev_b32_e32 v160, 16, v139
	v_lshrrev_b32_e32 v166, 16, v140
	v_fmac_f16_e64 v170, v26, v108
	v_mul_f16_e32 v108, v104, v108
	v_fmac_f16_e64 v148, v24, v91
	v_fma_f16 v91, v24, v156, -v150
	v_fmac_f16_e64 v152, v25, v107
	v_fma_f16 v107, v25, v157, -v153
	v_mul_f16_e64 v150, v104, v158
	v_mul_f16_e64 v153, v104, v109
	v_lshrrev_b32_e32 v161, 16, v141
	v_lshrrev_b32_e32 v167, 16, v142
	v_fma_f16 v108, v26, v154, -v108
	v_mul_f16_e64 v154, v105, v160
	v_mul_f16_e64 v156, v105, v139
	v_fmac_f16_e64 v150, v26, v109
	v_fma_f16 v109, v26, v158, -v153
	v_mul_f16_e64 v158, v105, v166
	v_mul_f16_e64 v105, v105, v140
	v_lshrrev_b32_e32 v162, 16, v143
	v_lshrrev_b32_e32 v168, 16, v144
	v_mul_f16_e64 v157, v103, v161
	v_fmac_f16_e64 v154, v24, v139
	v_fma_f16 v139, v24, v160, -v156
	v_fmac_f16_e64 v158, v24, v140
	v_fma_f16 v24, v24, v166, -v105
	v_mul_f16_e64 v105, v103, v167
	v_lshrrev_b32_e32 v23, 16, v1
	v_fmac_f16_e64 v157, v25, v141
	v_mul_f16_e64 v141, v103, v141
	v_mul_f16_e64 v153, v104, v162
	;; [unrolled: 1-line block ×3, first 2 shown]
	v_fmac_f16_e64 v105, v25, v142
	v_mul_f16_e64 v103, v103, v142
	v_mul_f16_e64 v142, v104, v168
	;; [unrolled: 1-line block ×3, first 2 shown]
	v_lshrrev_b32_e32 v151, 16, v88
	v_sub_f16_e64 v22, v147, v22
	v_lshrrev_b32_e32 v155, 16, v89
	v_sub_f16_e32 v112, v1, v112
	v_sub_f16_e32 v21, v23, v21
	v_sub_f16_e64 v140, v164, v169
	v_sub_f16_e32 v37, v3, v37
	v_lshrrev_b32_e32 v159, 16, v110
	v_fma_f16 v141, v25, v161, -v141
	v_fmac_f16_e64 v153, v26, v143
	v_fma_f16 v143, v26, v162, -v156
	v_fma_f16 v25, v25, v167, -v103
	v_fmac_f16_e64 v142, v26, v144
	v_fma_f16 v26, v26, v168, -v104
	v_sub_f16_e64 v103, v2, v145
	v_sub_f16_e64 v104, v171, v165
	v_sub_f16_e32 v38, v4, v38
	v_lshrrev_b32_e32 v163, 16, v111
	v_fma_f16 v145, v147, 2.0, -v22
	v_sub_f16_e64 v147, v88, v149
	v_sub_f16_e64 v106, v151, v106
	;; [unrolled: 1-line block ×3, first 2 shown]
	v_sub_f16_e32 v108, v90, v108
	v_fma_f16 v1, v1, 2.0, -v112
	v_fma_f16 v23, v23, 2.0, -v21
	;; [unrolled: 1-line block ×4, first 2 shown]
	v_sub_f16_e64 v152, v89, v152
	v_sub_f16_e64 v150, v148, v150
	;; [unrolled: 1-line block ×3, first 2 shown]
	v_sub_f16_e32 v109, v91, v109
	v_fma_f16 v2, v2, 2.0, -v103
	v_fma_f16 v144, v171, 2.0, -v104
	;; [unrolled: 1-line block ×3, first 2 shown]
	v_sub_f16_e64 v157, v110, v157
	v_sub_f16_e64 v153, v154, v153
	;; [unrolled: 1-line block ×4, first 2 shown]
	v_fma_f16 v88, v88, 2.0, -v147
	v_fma_f16 v151, v151, 2.0, -v106
	;; [unrolled: 1-line block ×4, first 2 shown]
	v_sub_f16_e32 v105, v111, v105
	v_sub_f16_e64 v25, v163, v25
	v_sub_f16_e64 v142, v158, v142
	v_sub_f16_e32 v26, v24, v26
	v_sub_f16_e64 v156, v1, v156
	v_sub_f16_e32 v3, v23, v3
	v_add_f16_e32 v37, v112, v37
	v_sub_f16_e64 v140, v21, v140
	v_fma_f16 v89, v89, 2.0, -v152
	v_fma_f16 v148, v148, 2.0, -v150
	;; [unrolled: 1-line block ×4, first 2 shown]
	v_sub_f16_e64 v144, v2, v144
	v_sub_f16_e64 v4, v145, v4
	v_add_f16_e32 v38, v103, v38
	v_sub_f16_e32 v104, v22, v104
	v_fma_f16 v110, v110, 2.0, -v157
	v_fma_f16 v154, v154, 2.0, -v153
	;; [unrolled: 1-line block ×4, first 2 shown]
	v_sub_f16_e64 v146, v88, v146
	v_sub_f16_e64 v90, v151, v90
	v_add_f16_e64 v108, v147, v108
	v_sub_f16_e64 v149, v106, v149
	v_fma_f16 v111, v111, 2.0, -v105
	v_fma_f16 v160, v163, 2.0, -v25
	;; [unrolled: 1-line block ×8, first 2 shown]
	v_sub_f16_e64 v148, v89, v148
	v_sub_f16_e64 v91, v155, v91
	v_add_f16_e64 v109, v152, v109
	v_sub_f16_e64 v150, v107, v150
	v_fma_f16 v2, v2, 2.0, -v144
	v_fma_f16 v145, v145, 2.0, -v4
	;; [unrolled: 1-line block ×4, first 2 shown]
	v_sub_f16_e64 v154, v110, v154
	v_sub_f16_e64 v139, v159, v139
	v_add_f16_e64 v143, v157, v143
	v_sub_f16_e64 v153, v141, v153
	v_fma_f16 v88, v88, 2.0, -v146
	v_fma_f16 v151, v151, 2.0, -v90
	;; [unrolled: 1-line block ×4, first 2 shown]
	v_sub_f16_e64 v158, v111, v158
	v_sub_f16_e64 v24, v160, v24
	v_add_f16_e32 v26, v105, v26
	v_sub_f16_e64 v142, v25, v142
	v_fma_f16 v89, v89, 2.0, -v148
	v_fma_f16 v155, v155, 2.0, -v91
	v_fma_f16 v152, v152, 2.0, -v109
	v_fma_f16 v107, v107, 2.0, -v150
	v_pack_b32_f16 v1, v1, v23
	v_pack_b32_f16 v21, v112, v21
	v_pack_b32_f16 v3, v156, v3
	v_pack_b32_f16 v23, v37, v140
	v_fma_f16 v110, v110, 2.0, -v154
	v_fma_f16 v159, v159, 2.0, -v139
	v_fma_f16 v157, v157, 2.0, -v143
	v_fma_f16 v141, v141, 2.0, -v153
	v_pack_b32_f16 v2, v2, v145
	v_pack_b32_f16 v22, v103, v22
	v_pack_b32_f16 v4, v144, v4
	v_pack_b32_f16 v37, v38, v104
	;; [unrolled: 8-line block ×3, first 2 shown]
	ds_store_2addr_stride64_b32 v95, v1, v21 offset1:1
	ds_store_2addr_stride64_b32 v95, v3, v23 offset0:2 offset1:3
	ds_store_2addr_stride64_b32 v97, v2, v22 offset1:1
	ds_store_2addr_stride64_b32 v97, v4, v37 offset0:2 offset1:3
	;; [unrolled: 2-line block ×3, first 2 shown]
	v_pack_b32_f16 v1, v89, v155
	v_pack_b32_f16 v2, v152, v107
	;; [unrolled: 1-line block ×12, first 2 shown]
	ds_store_2addr_stride64_b32 v92, v1, v2 offset1:1
	ds_store_2addr_stride64_b32 v92, v3, v4 offset0:2 offset1:3
	ds_store_2addr_stride64_b32 v94, v21, v22 offset1:1
	ds_store_2addr_stride64_b32 v94, v23, v37 offset0:2 offset1:3
	ds_store_2addr_stride64_b32 v93, v38, v25 offset1:1
	ds_store_2addr_stride64_b32 v93, v24, v26 offset0:2 offset1:3
	global_wb scope:SCOPE_SE
	s_wait_dscnt 0x0
	s_barrier_signal -1
	s_barrier_wait -1
	global_inv scope:SCOPE_SE
	ds_load_2addr_stride64_b32 v[3:4], v53 offset1:8
	ds_load_2addr_stride64_b32 v[21:22], v53 offset0:32 offset1:40
	ds_load_2addr_stride64_b32 v[23:24], v53 offset0:64 offset1:72
	;; [unrolled: 1-line block ×11, first 2 shown]
	global_wb scope:SCOPE_SE
	s_wait_dscnt 0x0
	s_barrier_signal -1
	s_barrier_wait -1
	global_inv scope:SCOPE_SE
	v_lshrrev_b32_e32 v105, 16, v3
	v_lshrrev_b32_e32 v106, 16, v21
	v_lshrrev_b32_e32 v107, 16, v23
	v_lshrrev_b32_e32 v108, 16, v25
	v_mul_f16_e64 v155, v117, v21
	v_lshrrev_b32_e32 v109, 16, v37
	v_mul_f16_e64 v153, v117, v106
	v_mul_f16_e64 v157, v116, v107
	v_lshrrev_b32_e32 v110, 16, v88
	v_fma_f16 v106, v5, v106, -v155
	v_mul_f16_e64 v155, v115, v108
	v_fmac_f16_e64 v153, v5, v21
	v_mul_f16_e32 v21, v116, v23
	v_lshrrev_b32_e32 v112, 16, v22
	v_fmac_f16_e64 v157, v6, v23
	v_mul_f16_e32 v23, v115, v25
	v_fmac_f16_e64 v155, v7, v25
	v_fma_f16 v21, v6, v107, -v21
	v_mul_f16_e32 v107, v114, v109
	v_mul_f16_e32 v25, v114, v37
	v_lshrrev_b32_e32 v139, 16, v24
	v_fma_f16 v23, v7, v108, -v23
	v_mul_f16_e32 v108, v113, v110
	v_fmac_f16_e32 v107, v8, v37
	v_mul_f16_e32 v37, v113, v88
	v_fma_f16 v25, v8, v109, -v25
	v_mul_f16_e32 v109, v117, v112
	v_lshrrev_b32_e32 v140, 16, v26
	v_lshrrev_b32_e32 v141, 16, v38
	v_fmac_f16_e32 v108, v102, v88
	v_mul_f16_e32 v88, v117, v22
	v_fma_f16 v37, v102, v110, -v37
	v_mul_f16_e64 v110, v116, v139
	v_fmac_f16_e32 v109, v5, v22
	v_mul_f16_e32 v22, v116, v24
	v_lshrrev_b32_e32 v142, 16, v89
	v_fma_f16 v88, v5, v112, -v88
	v_mul_f16_e64 v112, v115, v140
	v_fmac_f16_e32 v110, v6, v24
	v_mul_f16_e32 v24, v115, v26
	v_fma_f16 v22, v6, v139, -v22
	v_mul_f16_e64 v139, v114, v141
	v_lshrrev_b32_e32 v144, 16, v90
	v_lshrrev_b32_e32 v145, 16, v92
	v_fmac_f16_e32 v112, v7, v26
	v_mul_f16_e32 v26, v114, v38
	v_fma_f16 v24, v7, v140, -v24
	v_mul_f16_e64 v140, v113, v142
	v_fmac_f16_e64 v139, v8, v38
	v_mul_f16_e32 v38, v113, v89
	v_lshrrev_b32_e32 v146, 16, v94
	v_fma_f16 v26, v8, v141, -v26
	v_mul_f16_e64 v141, v117, v144
	v_fmac_f16_e64 v140, v102, v89
	v_mul_f16_e32 v89, v117, v90
	v_fma_f16 v38, v102, v142, -v38
	v_mul_f16_e64 v142, v116, v145
	v_lshrrev_b32_e32 v147, 16, v96
	v_lshrrev_b32_e32 v148, 16, v103
	v_fmac_f16_e64 v141, v5, v90
	v_mul_f16_e32 v90, v116, v92
	v_fma_f16 v89, v5, v144, -v89
	v_mul_f16_e64 v144, v115, v146
	v_fmac_f16_e64 v142, v6, v92
	v_mul_f16_e32 v92, v115, v94
	v_lshrrev_b32_e32 v150, 16, v91
	v_fma_f16 v90, v6, v145, -v90
	v_mul_f16_e64 v145, v114, v147
	v_fmac_f16_e64 v144, v7, v94
	v_mul_f16_e32 v94, v114, v96
	v_fma_f16 v92, v7, v146, -v92
	v_mul_f16_e64 v146, v113, v148
	v_lshrrev_b32_e32 v151, 16, v93
	v_lshrrev_b32_e32 v152, 16, v95
	v_fmac_f16_e64 v145, v8, v96
	v_mul_f16_e32 v96, v113, v103
	v_fma_f16 v94, v8, v147, -v94
	v_mul_f16_e64 v147, v117, v150
	v_fmac_f16_e64 v146, v102, v103
	v_mul_f16_e32 v103, v117, v91
	v_lshrrev_b32_e32 v154, 16, v97
	v_mul_f16_e64 v117, v116, v151
	v_fmac_f16_e64 v147, v5, v91
	v_mul_f16_e32 v91, v116, v93
	v_fma_f16 v5, v5, v150, -v103
	v_mul_f16_e64 v103, v115, v152
	v_lshrrev_b32_e32 v156, 16, v104
	v_fmac_f16_e32 v117, v6, v93
	v_mul_f16_e32 v93, v115, v95
	v_fma_f16 v6, v6, v151, -v91
	v_mul_f16_e64 v91, v114, v154
	v_fmac_f16_e32 v103, v7, v95
	v_mul_f16_e32 v95, v114, v97
	v_fma_f16 v7, v7, v152, -v93
	v_mul_f16_e64 v93, v113, v156
	v_fmac_f16_e32 v91, v8, v97
	v_mul_f16_e32 v97, v113, v104
	v_fma_f16 v8, v8, v154, -v95
	v_add_f16_e64 v95, v157, v107
	v_fma_f16 v96, v102, v148, -v96
	v_fmac_f16_e32 v93, v102, v104
	v_add_f16_e64 v104, v3, v157
	v_fma_f16 v97, v102, v156, -v97
	v_add_f16_e32 v102, v21, v25
	v_fma_f16 v3, -0.5, v95, v3
	v_sub_f16_e32 v95, v21, v25
	v_add_f16_e32 v104, v104, v107
	v_add_f16_e32 v21, v105, v21
	v_fmac_f16_e32 v105, -0.5, v102
	v_sub_f16_e64 v102, v157, v107
	v_fmamk_f16 v107, v95, 0xbaee, v3
	v_fmac_f16_e32 v3, 0x3aee, v95
	v_add_f16_e32 v95, v23, v37
	v_add_f16_e64 v113, v155, v108
	v_add_f16_e32 v114, v106, v23
	v_add_f16_e32 v21, v21, v25
	v_fmamk_f16 v25, v102, 0x3aee, v105
	v_fmac_f16_e32 v106, -0.5, v95
	v_sub_f16_e64 v95, v155, v108
	v_add_f16_e64 v115, v153, v155
	v_fmac_f16_e64 v153, -0.5, v113
	v_sub_f16_e32 v23, v23, v37
	v_fmac_f16_e32 v105, 0xbaee, v102
	v_fmamk_f16 v102, v95, 0x3aee, v106
	v_fmac_f16_e32 v106, 0xbaee, v95
	v_add_f16_e32 v95, v115, v108
	v_fma_f16 v108, 0xbaee, v23, v153
	v_fmac_f16_e64 v153, 0x3aee, v23
	v_mul_f16_e32 v23, 0xbaee, v102
	v_add_f16_e32 v37, v114, v37
	v_mul_f16_e32 v102, 0.5, v102
	v_mul_f16_e32 v113, 0xbaee, v106
	v_mul_f16_e32 v106, -0.5, v106
	v_lshrrev_b32_e32 v111, 16, v4
	v_add_f16_e32 v116, v21, v37
	v_fmac_f16_e32 v102, 0x3aee, v108
	v_sub_f16_e32 v21, v21, v37
	v_add_f16_e64 v37, v110, v139
	v_fmac_f16_e64 v106, 0x3aee, v153
	v_fmac_f16_e32 v23, 0.5, v108
	v_add_f16_e64 v148, v25, v102
	v_sub_f16_e32 v25, v25, v102
	v_add_f16_e32 v102, v4, v110
	v_fmac_f16_e32 v4, -0.5, v37
	v_sub_f16_e32 v37, v22, v26
	v_add_f16_e32 v114, v104, v95
	v_add_f16_e64 v150, v105, v106
	v_sub_f16_e32 v95, v104, v95
	v_sub_f16_e32 v104, v105, v106
	v_add_f16_e32 v105, v22, v26
	v_fmamk_f16 v106, v37, 0xbaee, v4
	v_fmac_f16_e32 v4, 0x3aee, v37
	v_add_f16_e32 v37, v24, v38
	v_add_f16_e32 v108, v107, v23
	v_sub_f16_e32 v23, v107, v23
	v_add_f16_e32 v22, v111, v22
	v_fmac_f16_e32 v111, -0.5, v105
	v_sub_f16_e64 v105, v110, v139
	v_add_f16_e64 v107, v112, v140
	v_add_f16_e32 v110, v88, v24
	v_fmac_f16_e32 v88, -0.5, v37
	v_sub_f16_e64 v37, v112, v140
	v_fmac_f16_e64 v113, -0.5, v153
	v_add_f16_e32 v22, v22, v26
	v_fmamk_f16 v26, v105, 0x3aee, v111
	v_add_f16_e32 v112, v109, v112
	v_fmac_f16_e32 v109, -0.5, v107
	v_sub_f16_e32 v24, v24, v38
	v_fmac_f16_e32 v111, 0xbaee, v105
	v_fmamk_f16 v105, v37, 0x3aee, v88
	v_add_f16_e32 v38, v110, v38
	v_add_f16_e32 v115, v3, v113
	v_sub_f16_e32 v3, v3, v113
	v_add_f16_e64 v102, v102, v139
	v_fmac_f16_e32 v88, 0xbaee, v37
	v_add_f16_e64 v37, v112, v140
	v_fmamk_f16 v107, v24, 0xbaee, v109
	v_fmac_f16_e32 v109, 0x3aee, v24
	v_mul_f16_e32 v24, 0xbaee, v105
	v_mul_f16_e32 v105, 0.5, v105
	v_add_f16_e32 v113, v22, v38
	v_sub_f16_e32 v22, v22, v38
	v_add_f16_e64 v38, v142, v145
	v_lshrrev_b32_e32 v143, 16, v1
	v_mul_f16_e32 v112, 0xbaee, v88
	v_mul_f16_e32 v88, -0.5, v88
	v_fmac_f16_e32 v24, 0.5, v107
	v_add_f16_e32 v110, v102, v37
	v_fmac_f16_e32 v105, 0x3aee, v107
	v_sub_f16_e32 v37, v102, v37
	v_add_f16_e64 v102, v1, v142
	v_fma_f16 v1, -0.5, v38, v1
	v_sub_f16_e32 v38, v90, v94
	v_fmac_f16_e32 v112, -0.5, v109
	v_fmac_f16_e32 v88, 0x3aee, v109
	v_add_f16_e32 v107, v106, v24
	v_add_f16_e64 v139, v26, v105
	v_sub_f16_e32 v24, v106, v24
	v_sub_f16_e32 v26, v26, v105
	v_add_f16_e32 v105, v90, v94
	v_fmamk_f16 v106, v38, 0xbaee, v1
	v_fmac_f16_e32 v1, 0x3aee, v38
	v_add_f16_e32 v38, v92, v96
	v_add_f16_e32 v109, v4, v112
	v_add_f16_e64 v140, v111, v88
	v_sub_f16_e32 v4, v4, v112
	v_sub_f16_e32 v88, v111, v88
	v_add_f16_e64 v90, v143, v90
	v_fmac_f16_e64 v143, -0.5, v105
	v_sub_f16_e64 v105, v142, v145
	v_add_f16_e64 v111, v144, v146
	v_add_f16_e32 v112, v89, v92
	v_fmac_f16_e32 v89, -0.5, v38
	v_sub_f16_e64 v38, v144, v146
	v_add_f16_e32 v90, v90, v94
	v_fma_f16 v94, 0x3aee, v105, v143
	v_add_f16_e64 v142, v141, v144
	v_fmac_f16_e64 v141, -0.5, v111
	v_sub_f16_e32 v92, v92, v96
	v_fmac_f16_e64 v143, 0xbaee, v105
	v_fmamk_f16 v105, v38, 0x3aee, v89
	v_add_f16_e32 v96, v112, v96
	v_add_f16_e64 v102, v102, v145
	v_fma_f16 v111, 0xbaee, v92, v141
	v_fmac_f16_e64 v141, 0x3aee, v92
	v_mul_f16_e32 v92, 0xbaee, v105
	v_mul_f16_e32 v105, 0.5, v105
	v_fmac_f16_e32 v89, 0xbaee, v38
	v_add_f16_e64 v38, v142, v146
	v_add_f16_e64 v144, v90, v96
	v_sub_f16_e32 v90, v90, v96
	v_fmac_f16_e32 v105, 0x3aee, v111
	v_add_f16_e32 v96, v117, v91
	v_lshrrev_b32_e32 v149, 16, v2
	v_add_f16_e32 v112, v102, v38
	v_sub_f16_e32 v38, v102, v38
	v_add_f16_e64 v145, v94, v105
	v_sub_f16_e32 v94, v94, v105
	v_add_f16_e32 v102, v2, v117
	v_add_f16_e32 v105, v6, v8
	v_fmac_f16_e32 v2, -0.5, v96
	v_sub_f16_e32 v96, v6, v8
	v_fmac_f16_e32 v92, 0.5, v111
	v_add_f16_e64 v6, v149, v6
	v_fmac_f16_e64 v149, -0.5, v105
	v_add_f16_e32 v102, v102, v91
	v_fmamk_f16 v105, v96, 0xbaee, v2
	v_fmac_f16_e32 v2, 0x3aee, v96
	v_add_f16_e32 v96, v7, v97
	v_add_f16_e32 v111, v106, v92
	v_sub_f16_e32 v92, v106, v92
	v_sub_f16_e32 v91, v117, v91
	v_add_f16_e32 v106, v103, v93
	v_add_f16_e32 v117, v5, v7
	v_fmac_f16_e32 v5, -0.5, v96
	v_sub_f16_e32 v96, v103, v93
	v_add_f16_e32 v6, v6, v8
	v_fma_f16 v8, 0x3aee, v91, v149
	v_add_f16_e64 v103, v147, v103
	v_fmac_f16_e64 v147, -0.5, v106
	v_sub_f16_e32 v7, v7, v97
	v_fmac_f16_e64 v149, 0xbaee, v91
	v_fmamk_f16 v91, v96, 0x3aee, v5
	v_mul_f16_e64 v142, 0xbaee, v89
	v_mul_f16_e32 v89, -0.5, v89
	v_fmac_f16_e32 v5, 0xbaee, v96
	v_fma_f16 v96, 0xbaee, v7, v147
	v_fmac_f16_e64 v147, 0x3aee, v7
	v_mul_f16_e32 v7, 0xbaee, v91
	v_mul_f16_e32 v91, 0.5, v91
	v_fmac_f16_e64 v142, -0.5, v141
	v_fmac_f16_e64 v89, 0x3aee, v141
	v_add_f16_e32 v97, v117, v97
	v_add_f16_e32 v93, v103, v93
	v_fmac_f16_e32 v91, 0x3aee, v96
	v_mul_f16_e32 v103, 0xbaee, v5
	v_mul_f16_e32 v5, -0.5, v5
	v_add_f16_e64 v141, v1, v142
	v_add_f16_e64 v146, v143, v89
	v_sub_f16_e64 v1, v1, v142
	v_sub_f16_e64 v89, v143, v89
	v_add_f16_e64 v142, v6, v97
	v_add_f16_e64 v143, v8, v91
	v_sub_f16_e32 v6, v6, v97
	v_sub_f16_e32 v8, v8, v91
	v_pack_b32_f16 v91, v114, v116
	v_pack_b32_f16 v97, v108, v148
	v_add_f16_e32 v106, v102, v93
	v_sub_f16_e32 v93, v102, v93
	v_pack_b32_f16 v102, v115, v150
	v_pack_b32_f16 v21, v95, v21
	v_fmac_f16_e32 v7, 0.5, v96
	v_fmac_f16_e64 v103, -0.5, v147
	v_fmac_f16_e64 v5, 0x3aee, v147
	ds_store_2addr_stride64_b32 v100, v91, v97 offset1:4
	ds_store_2addr_stride64_b32 v100, v102, v21 offset0:8 offset1:12
	v_pack_b32_f16 v21, v23, v25
	v_pack_b32_f16 v3, v3, v104
	;; [unrolled: 1-line block ×4, first 2 shown]
	v_add_f16_e32 v96, v105, v7
	v_pack_b32_f16 v91, v109, v140
	v_pack_b32_f16 v22, v37, v22
	v_add_f16_e32 v117, v2, v103
	v_add_f16_e64 v147, v149, v5
	v_pack_b32_f16 v24, v24, v26
	v_pack_b32_f16 v4, v4, v88
	v_sub_f16_e32 v7, v105, v7
	v_sub_f16_e32 v2, v2, v103
	v_sub_f16_e64 v5, v149, v5
	v_pack_b32_f16 v26, v112, v144
	v_pack_b32_f16 v37, v111, v145
	ds_store_2addr_stride64_b32 v100, v21, v3 offset0:16 offset1:20
	ds_store_2addr_stride64_b32 v101, v23, v25 offset1:4
	ds_store_2addr_stride64_b32 v101, v91, v22 offset0:8 offset1:12
	ds_store_2addr_stride64_b32 v101, v24, v4 offset0:16 offset1:20
	ds_store_2addr_stride64_b32 v99, v26, v37 offset1:4
	v_pack_b32_f16 v3, v141, v146
	v_pack_b32_f16 v4, v38, v90
	;; [unrolled: 1-line block ×10, first 2 shown]
	ds_store_2addr_stride64_b32 v99, v3, v4 offset0:8 offset1:12
	ds_store_2addr_stride64_b32 v99, v21, v1 offset0:16 offset1:20
	ds_store_2addr_stride64_b32 v98, v22, v23 offset1:4
	ds_store_2addr_stride64_b32 v98, v24, v6 offset0:8 offset1:12
	ds_store_2addr_stride64_b32 v98, v7, v2 offset0:16 offset1:20
	global_wb scope:SCOPE_SE
	s_wait_dscnt 0x0
	s_barrier_signal -1
	s_barrier_wait -1
	global_inv scope:SCOPE_SE
	ds_load_2addr_stride64_b32 v[1:2], v53 offset1:8
	ds_load_2addr_stride64_b32 v[3:4], v53 offset0:16 offset1:24
	ds_load_2addr_stride64_b32 v[5:6], v53 offset0:48 offset1:56
	;; [unrolled: 1-line block ×11, first 2 shown]
	s_wait_dscnt 0xb
	v_lshrrev_b32_e32 v96, 16, v1
	s_wait_dscnt 0xa
	v_lshrrev_b32_e32 v97, 16, v4
	;; [unrolled: 2-line block ×6, first 2 shown]
	v_mul_f16_e64 v117, v138, v97
	v_mul_f16_e64 v138, v138, v4
	s_wait_dscnt 0x5
	v_lshrrev_b32_e32 v102, 16, v25
	s_wait_dscnt 0x4
	v_lshrrev_b32_e32 v103, 16, v38
	;; [unrolled: 2-line block ×3, first 2 shown]
	v_fmac_f16_e32 v117, v17, v4
	v_mul_f16_e64 v4, v137, v98
	v_mul_f16_e64 v137, v137, v5
	v_fma_f16 v17, v17, v97, -v138
	v_mul_f16_e64 v97, v136, v99
	v_mul_f16_e64 v136, v136, v8
	v_fmac_f16_e32 v4, v18, v5
	v_fma_f16 v5, v18, v98, -v137
	v_mul_f16_e64 v18, v135, v100
	v_fmac_f16_e32 v97, v19, v8
	v_fma_f16 v8, v19, v99, -v136
	v_mul_f16_e64 v19, v135, v21
	v_mul_f16_e64 v98, v134, v101
	;; [unrolled: 1-line block ×3, first 2 shown]
	v_lshrrev_b32_e32 v106, 16, v6
	v_fmac_f16_e32 v18, v20, v21
	v_mul_f16_e64 v21, v134, v24
	v_fma_f16 v19, v20, v100, -v19
	v_fmac_f16_e32 v98, v33, v24
	v_mul_f16_e64 v20, v132, v25
	v_fmac_f16_e32 v99, v34, v25
	v_mul_f16_e64 v24, v133, v103
	v_mul_f16_e64 v25, v133, v38
	s_wait_dscnt 0x2
	v_lshrrev_b32_e32 v107, 16, v90
	v_lshrrev_b32_e32 v108, 16, v22
	v_fma_f16 v21, v33, v101, -v21
	v_fma_f16 v20, v34, v102, -v20
	v_mul_f16_e64 v33, v131, v105
	v_mul_f16_e64 v34, v131, v88
	v_fmac_f16_e32 v24, v35, v38
	v_fma_f16 v25, v35, v103, -v25
	v_mul_f16_e64 v35, v130, v106
	s_wait_dscnt 0x1
	v_lshrrev_b32_e32 v109, 16, v92
	v_fmac_f16_e32 v33, v13, v88
	v_fma_f16 v13, v13, v105, -v34
	v_mul_f16_e64 v34, v130, v6
	v_mul_f16_e64 v38, v129, v107
	v_fmac_f16_e32 v35, v14, v6
	v_mul_f16_e64 v6, v129, v90
	v_mul_f16_e64 v88, v128, v108
	v_lshrrev_b32_e32 v110, 16, v26
	s_wait_dscnt 0x0
	v_lshrrev_b32_e32 v111, 16, v94
	v_fma_f16 v14, v14, v106, -v34
	v_fmac_f16_e32 v38, v15, v90
	v_mul_f16_e64 v34, v128, v22
	v_fma_f16 v6, v15, v107, -v6
	v_fmac_f16_e32 v88, v16, v22
	v_mul_f16_e32 v15, v127, v109
	v_mul_f16_e32 v22, v127, v92
	v_lshrrev_b32_e32 v114, 16, v7
	v_fma_f16 v16, v16, v108, -v34
	v_mul_f16_e32 v34, v126, v110
	v_mul_f16_e32 v90, v126, v26
	v_fmac_f16_e32 v15, v30, v92
	v_fma_f16 v22, v30, v109, -v22
	v_mul_f16_e32 v30, v125, v111
	v_lshrrev_b32_e32 v113, 16, v89
	v_lshrrev_b32_e32 v115, 16, v91
	v_fmac_f16_e32 v34, v31, v26
	v_fma_f16 v26, v31, v110, -v90
	v_mul_f16_e32 v31, v125, v94
	v_fmac_f16_e32 v30, v32, v94
	v_mul_f16_e32 v94, v123, v114
	v_lshrrev_b32_e32 v116, 16, v23
	v_lshrrev_b32_e32 v140, 16, v37
	v_mul_f16_e32 v90, v124, v113
	v_mul_f16_e32 v92, v124, v89
	v_fma_f16 v31, v32, v111, -v31
	v_mul_f16_e32 v32, v123, v7
	v_fmac_f16_e32 v94, v10, v7
	v_mul_f16_e32 v7, v122, v115
	v_lshrrev_b32_e32 v139, 16, v93
	v_fmac_f16_e32 v90, v9, v89
	v_fma_f16 v9, v9, v113, -v92
	v_mul_f16_e32 v89, v122, v91
	v_fma_f16 v10, v10, v114, -v32
	v_mul_f16_e32 v32, v121, v116
	v_mul_f16_e32 v92, v121, v23
	v_fmac_f16_e32 v7, v11, v91
	v_mul_f16_e64 v91, v119, v140
	v_fma_f16 v11, v11, v115, -v89
	v_mul_f16_e64 v89, v120, v139
	v_fmac_f16_e32 v32, v12, v23
	v_fma_f16 v12, v12, v116, -v92
	v_mul_f16_e32 v23, v120, v93
	v_mul_f16_e32 v92, v119, v37
	v_fmac_f16_e32 v91, v28, v37
	v_sub_f16_e32 v18, v1, v18
	v_sub_f16_e32 v19, v96, v19
	;; [unrolled: 1-line block ×6, first 2 shown]
	v_lshrrev_b32_e32 v141, 16, v95
	v_fmac_f16_e32 v89, v27, v93
	v_fma_f16 v23, v27, v139, -v23
	v_fma_f16 v27, v28, v140, -v92
	v_sub_f16_e32 v28, v4, v99
	v_fma_f16 v92, v96, 2.0, -v19
	v_fma_f16 v5, v5, 2.0, -v20
	v_sub_f16_e32 v24, v97, v24
	v_fma_f16 v17, v17, 2.0, -v21
	v_fma_f16 v8, v8, 2.0, -v25
	v_add_f16_e32 v20, v18, v20
	v_add_f16_e32 v25, v37, v25
	v_mul_f16_e64 v93, v118, v141
	v_fma_f16 v1, v1, 2.0, -v18
	v_fma_f16 v4, v4, 2.0, -v28
	;; [unrolled: 1-line block ×3, first 2 shown]
	v_sub_f16_e32 v5, v92, v5
	v_fma_f16 v97, v97, 2.0, -v24
	v_sub_f16_e32 v28, v19, v28
	v_fma_f16 v18, v18, 2.0, -v20
	v_sub_f16_e32 v24, v21, v24
	v_sub_f16_e32 v8, v17, v8
	v_fma_f16 v37, v37, 2.0, -v25
	v_fmac_f16_e32 v93, v29, v95
	v_fma_f16 v92, v92, 2.0, -v5
	v_fma_f16 v19, v19, 2.0, -v28
	;; [unrolled: 1-line block ×4, first 2 shown]
	v_fmamk_f16 v98, v37, 0xb9a8, v18
	v_mul_f16_e32 v95, v118, v95
	v_lshrrev_b32_e32 v104, 16, v2
	v_fmamk_f16 v99, v21, 0xb9a8, v19
	v_sub_f16_e32 v17, v92, v17
	v_fmac_f16_e32 v98, 0x39a8, v21
	v_fma_f16 v21, v29, v141, -v95
	v_fmamk_f16 v95, v24, 0x39a8, v28
	v_sub_f16_e32 v88, v2, v88
	v_fma_f16 v29, v92, 2.0, -v17
	v_fmamk_f16 v92, v25, 0x39a8, v20
	v_sub_f16_e32 v16, v104, v16
	v_fmac_f16_e32 v95, 0xb9a8, v25
	v_sub_f16_e32 v25, v14, v26
	v_sub_f16_e32 v15, v33, v15
	;; [unrolled: 1-line block ×4, first 2 shown]
	v_fmac_f16_e32 v92, 0x39a8, v24
	v_sub_f16_e32 v24, v35, v34
	v_fma_f16 v26, v104, 2.0, -v16
	v_fma_f16 v14, v14, 2.0, -v25
	v_sub_f16_e32 v30, v38, v30
	v_fma_f16 v13, v13, 2.0, -v22
	v_fma_f16 v6, v6, 2.0, -v31
	v_add_f16_e32 v25, v88, v25
	v_add_f16_e32 v31, v15, v31
	v_fma_f16 v34, v35, 2.0, -v24
	v_fma_f16 v33, v33, 2.0, -v15
	v_sub_f16_e32 v14, v26, v14
	v_fma_f16 v35, v38, 2.0, -v30
	v_sub_f16_e32 v24, v16, v24
	v_fma_f16 v38, v88, 2.0, -v25
	v_sub_f16_e32 v30, v22, v30
	v_sub_f16_e32 v6, v13, v6
	v_fma_f16 v15, v15, 2.0, -v31
	v_sub_f16_e32 v97, v96, v97
	v_fma_f16 v2, v2, 2.0, -v88
	v_fma_f16 v26, v26, 2.0, -v14
	v_fma_f16 v16, v16, 2.0, -v24
	v_fma_f16 v22, v22, 2.0, -v30
	v_fma_f16 v13, v13, 2.0, -v6
	v_fmamk_f16 v88, v15, 0xb9a8, v38
	v_lshrrev_b32_e32 v112, 16, v3
	v_fma_f16 v96, v96, 2.0, -v97
	v_fmac_f16_e32 v99, 0xb9a8, v37
	v_sub_f16_e32 v37, v5, v97
	v_sub_f16_e32 v35, v33, v35
	v_fmamk_f16 v97, v22, 0xb9a8, v16
	v_sub_f16_e32 v13, v26, v13
	v_fmac_f16_e32 v88, 0x39a8, v22
	v_fma_f16 v22, v28, 2.0, -v95
	v_fma_f16 v33, v33, 2.0, -v35
	v_fmac_f16_e32 v97, 0xb9a8, v15
	v_fma_f16 v15, v26, 2.0, -v13
	v_fma_f16 v26, v38, 2.0, -v88
	v_sub_f16_e32 v28, v14, v35
	v_fmamk_f16 v35, v31, 0x39a8, v25
	v_fmamk_f16 v38, v30, 0x39a8, v24
	v_sub_f16_e32 v12, v112, v12
	v_sub_f16_e32 v27, v10, v27
	;; [unrolled: 1-line block ×5, first 2 shown]
	v_fmac_f16_e32 v35, 0x39a8, v30
	v_fmac_f16_e32 v38, 0xb9a8, v31
	v_sub_f16_e32 v30, v94, v91
	v_sub_f16_e32 v31, v90, v89
	v_fma_f16 v89, v112, 2.0, -v12
	v_fma_f16 v10, v10, 2.0, -v27
	v_sub_f16_e32 v93, v7, v93
	v_fma_f16 v9, v9, 2.0, -v23
	v_fma_f16 v11, v11, 2.0, -v21
	;; [unrolled: 1-line block ×5, first 2 shown]
	v_sub_f16_e32 v10, v89, v10
	v_fma_f16 v7, v7, 2.0, -v93
	v_add_f16_e32 v27, v32, v27
	v_sub_f16_e32 v30, v12, v30
	v_add_f16_e32 v21, v31, v21
	v_sub_f16_e32 v11, v9, v11
	v_sub_f16_e32 v93, v23, v93
	;; [unrolled: 1-line block ×5, first 2 shown]
	v_fma_f16 v89, v89, 2.0, -v10
	v_fma_f16 v32, v32, 2.0, -v27
	v_sub_f16_e32 v7, v90, v7
	v_fma_f16 v12, v12, 2.0, -v30
	v_fma_f16 v31, v31, 2.0, -v21
	;; [unrolled: 1-line block ×6, first 2 shown]
	v_add_f16_e32 v8, v4, v8
	v_add_f16_e32 v6, v34, v6
	v_fma_f16 v3, v3, 2.0, -v91
	v_fma_f16 v90, v90, 2.0, -v7
	v_fmamk_f16 v94, v31, 0xb9a8, v32
	v_sub_f16_e32 v9, v89, v9
	v_fmamk_f16 v100, v23, 0xb9a8, v12
	v_sub_f16_e32 v96, v1, v96
	v_sub_f16_e32 v33, v2, v33
	v_fma_f16 v4, v4, 2.0, -v8
	v_fma_f16 v5, v5, 2.0, -v37
	;; [unrolled: 1-line block ×4, first 2 shown]
	v_sub_f16_e32 v90, v3, v90
	v_fmac_f16_e32 v94, 0x39a8, v23
	v_fma_f16 v23, v89, 2.0, -v9
	v_fmac_f16_e32 v100, 0xb9a8, v31
	v_fmamk_f16 v31, v21, 0x39a8, v27
	v_fmamk_f16 v89, v93, 0x39a8, v30
	v_fma_f16 v1, v1, 2.0, -v96
	v_fma_f16 v2, v2, 2.0, -v33
	v_add_f16_e32 v11, v91, v11
	v_sub_f16_e32 v7, v10, v7
	v_fma_f16 v18, v18, 2.0, -v98
	v_fma_f16 v19, v19, 2.0, -v99
	;; [unrolled: 1-line block ×3, first 2 shown]
	v_fmac_f16_e32 v31, 0x39a8, v93
	v_fmac_f16_e32 v89, 0xb9a8, v21
	v_pack_b32_f16 v4, v4, v5
	v_pack_b32_f16 v14, v34, v14
	v_fma_f16 v16, v16, 2.0, -v97
	v_fma_f16 v32, v32, 2.0, -v94
	;; [unrolled: 1-line block ×3, first 2 shown]
	v_pack_b32_f16 v1, v1, v29
	v_pack_b32_f16 v2, v2, v15
	v_fma_f16 v20, v20, 2.0, -v92
	v_fma_f16 v21, v91, 2.0, -v11
	;; [unrolled: 1-line block ×7, first 2 shown]
	v_pack_b32_f16 v18, v18, v19
	v_pack_b32_f16 v17, v96, v17
	;; [unrolled: 1-line block ×4, first 2 shown]
	ds_store_2addr_stride64_b32 v53, v4, v14 offset0:48 offset1:56
	v_pack_b32_f16 v4, v6, v28
	v_pack_b32_f16 v3, v3, v23
	ds_store_2addr_stride64_b32 v53, v1, v2 offset1:8
	v_pack_b32_f16 v1, v26, v16
	v_pack_b32_f16 v12, v32, v12
	;; [unrolled: 1-line block ×5, first 2 shown]
	ds_store_2addr_stride64_b32 v53, v17, v13 offset0:96 offset1:104
	ds_store_2addr_stride64_b32 v53, v8, v4 offset0:144 offset1:152
	;; [unrolled: 1-line block ×5, first 2 shown]
	v_pack_b32_f16 v1, v27, v30
	v_pack_b32_f16 v19, v98, v99
	;; [unrolled: 1-line block ×9, first 2 shown]
	ds_store_2addr_stride64_b32 v53, v2, v1 offset0:80 offset1:88
	ds_store_2addr_stride64_b32 v53, v3, v19 offset0:112 offset1:120
	;; [unrolled: 1-line block ×5, first 2 shown]
	global_wb scope:SCOPE_SE
	s_wait_dscnt 0x0
	s_barrier_signal -1
	s_barrier_wait -1
	global_inv scope:SCOPE_SE
	ds_load_2addr_stride64_b32 v[10:11], v53 offset1:8
	v_mad_co_u64_u32 v[12:13], null, s6, v36, 0
	s_wait_dscnt 0x0
	v_lshrrev_b32_e32 v3, 16, v10
	v_mul_f16_e32 v4, v87, v10
	s_delay_alu instid0(VALU_DEP_2) | instskip(NEXT) | instid1(VALU_DEP_2)
	v_mul_f16_e32 v1, v87, v3
	v_fma_f16 v3, v82, v3, -v4
	ds_load_2addr_stride64_b32 v[4:5], v53 offset0:16 offset1:24
	v_fmac_f16_e32 v1, v82, v10
	v_cvt_f32_f16_e32 v3, v3
	s_delay_alu instid0(VALU_DEP_2) | instskip(NEXT) | instid1(VALU_DEP_2)
	v_cvt_f32_f16_e32 v1, v1
	v_cvt_f64_f32_e32 v[6:7], v3
	s_delay_alu instid0(VALU_DEP_2) | instskip(SKIP_2) | instid1(VALU_DEP_1)
	v_cvt_f64_f32_e32 v[1:2], v1
	s_wait_dscnt 0x0
	v_lshrrev_b32_e32 v3, 16, v5
	v_mul_f16_e32 v8, v86, v3
	s_delay_alu instid0(VALU_DEP_1) | instskip(SKIP_1) | instid1(VALU_DEP_2)
	v_fmac_f16_e32 v8, v83, v5
	v_mul_f16_e32 v5, v86, v5
	v_cvt_f32_f16_e32 v8, v8
	s_delay_alu instid0(VALU_DEP_2) | instskip(NEXT) | instid1(VALU_DEP_2)
	v_fma_f16 v3, v83, v3, -v5
	v_cvt_f64_f32_e32 v[8:9], v8
	s_delay_alu instid0(VALU_DEP_2) | instskip(SKIP_2) | instid1(VALU_DEP_4)
	v_cvt_f32_f16_e32 v3, v3
	v_mul_f64_e32 v[6:7], s[2:3], v[6:7]
	v_mul_f64_e32 v[1:2], s[2:3], v[1:2]
	;; [unrolled: 1-line block ×3, first 2 shown]
	s_delay_alu instid0(VALU_DEP_3)
	v_and_or_b32 v6, 0x1ff, v7, v6
	v_lshrrev_b32_e32 v17, 8, v7
	v_bfe_u32 v18, v7, 20, 11
	v_lshrrev_b32_e32 v7, 16, v7
	v_and_or_b32 v1, 0x1ff, v2, v1
	v_lshrrev_b32_e32 v10, 8, v2
	v_bfe_u32 v14, v2, 20, 11
	v_add_nc_u32_e32 v23, 0xfffffc10, v18
	s_delay_alu instid0(VALU_DEP_4) | instskip(NEXT) | instid1(VALU_DEP_3)
	v_cmp_ne_u32_e32 vcc_lo, 0, v1
	v_add_nc_u32_e32 v21, 0xfffffc10, v14
	s_delay_alu instid0(VALU_DEP_3) | instskip(SKIP_3) | instid1(VALU_DEP_2)
	v_cmp_gt_i32_e64 s1, 1, v23
	s_wait_alu 0xfffd
	v_cndmask_b32_e64 v1, 0, 1, vcc_lo
	v_cmp_ne_u32_e32 vcc_lo, 0, v6
	v_and_or_b32 v10, 0xffe, v10, v1
	v_sub_nc_u32_e32 v1, 0x3f1, v14
	s_wait_alu 0xfffd
	v_cndmask_b32_e64 v6, 0, 1, vcc_lo
	s_delay_alu instid0(VALU_DEP_3) | instskip(NEXT) | instid1(VALU_DEP_3)
	v_or_b32_e32 v15, 0x1000, v10
	v_med3_i32 v1, v1, 0, 13
	s_delay_alu instid0(VALU_DEP_3) | instskip(SKIP_1) | instid1(VALU_DEP_3)
	v_and_or_b32 v19, 0xffe, v17, v6
	v_sub_nc_u32_e32 v6, 0x3f1, v18
	v_lshrrev_b32_e32 v16, v1, v15
	s_delay_alu instid0(VALU_DEP_3) | instskip(NEXT) | instid1(VALU_DEP_3)
	v_or_b32_e32 v17, 0x1000, v19
	v_med3_i32 v20, v6, 0, 13
	ds_load_2addr_stride64_b32 v[5:6], v53 offset0:48 offset1:56
	v_and_or_b32 v8, 0x1ff, v9, v8
	v_lshlrev_b32_e32 v1, v1, v16
	v_bfe_u32 v24, v9, 20, 11
	v_lshrrev_b32_e32 v22, v20, v17
	s_delay_alu instid0(VALU_DEP_3) | instskip(SKIP_4) | instid1(VALU_DEP_2)
	v_cmp_ne_u32_e32 vcc_lo, v1, v15
	v_cvt_f64_f32_e32 v[14:15], v3
	s_wait_alu 0xfffd
	v_cndmask_b32_e64 v1, 0, 1, vcc_lo
	v_cmp_gt_i32_e32 vcc_lo, 1, v21
	v_or_b32_e32 v1, v16, v1
	v_lshl_or_b32 v16, v21, 12, v10
	s_wait_alu 0xfffd
	s_delay_alu instid0(VALU_DEP_1) | instskip(SKIP_1) | instid1(VALU_DEP_2)
	v_cndmask_b32_e32 v3, v16, v1, vcc_lo
	v_dual_mov_b32 v1, v13 :: v_dual_lshlrev_b32 v16, v20, v22
	v_and_b32_e32 v13, 7, v3
	s_delay_alu instid0(VALU_DEP_2) | instskip(NEXT) | instid1(VALU_DEP_3)
	v_cmp_ne_u32_e32 vcc_lo, v16, v17
	v_mad_co_u64_u32 v[16:17], null, s7, v36, v[1:2]
	v_lshrrev_b32_e32 v3, 2, v3
	s_delay_alu instid0(VALU_DEP_4)
	v_cmp_eq_u32_e64 s0, 3, v13
	s_wait_alu 0xfffd
	v_cndmask_b32_e64 v20, 0, 1, vcc_lo
	v_cmp_lt_i32_e32 vcc_lo, 5, v13
	v_lshl_or_b32 v17, v23, 12, v19
	v_lshrrev_b32_e32 v2, 16, v2
	s_mul_u64 s[6:7], s[4:5], 0x1800
	v_or_b32_e32 v1, v22, v20
	s_wait_dscnt 0x0
	v_lshrrev_b32_e32 v22, 16, v5
	s_or_b32 vcc_lo, s0, vcc_lo
	s_wait_alu 0xfffe
	v_add_co_ci_u32_e32 v3, vcc_lo, 0, v3, vcc_lo
	v_cndmask_b32_e64 v1, v17, v1, s1
	v_cmp_ne_u32_e32 vcc_lo, 0, v10
	v_mul_f16_e32 v13, v85, v22
	v_mul_f64_e32 v[14:15], s[2:3], v[14:15]
	s_delay_alu instid0(VALU_DEP_4)
	v_and_b32_e32 v17, 7, v1
	s_wait_alu 0xfffd
	v_cndmask_b32_e64 v10, 0, 1, vcc_lo
	v_cmp_gt_i32_e32 vcc_lo, 31, v21
	v_fmac_f16_e32 v13, v80, v5
	v_lshrrev_b32_e32 v1, 2, v1
	v_cmp_eq_u32_e64 s0, 3, v17
	v_lshl_or_b32 v10, v10, 9, 0x7c00
	s_wait_alu 0xfffd
	v_cndmask_b32_e32 v3, 0x7c00, v3, vcc_lo
	v_cmp_lt_i32_e32 vcc_lo, 5, v17
	v_cvt_f32_f16_e32 v13, v13
	s_or_b32 vcc_lo, s0, vcc_lo
	s_delay_alu instid0(VALU_DEP_1)
	v_cvt_f64_f32_e32 v[17:18], v13
	s_wait_alu 0xfffe
	v_add_co_ci_u32_e32 v1, vcc_lo, 0, v1, vcc_lo
	v_cmp_ne_u32_e32 vcc_lo, 0, v8
	v_lshrrev_b32_e32 v13, 8, v9
	s_wait_alu 0xfffd
	v_cndmask_b32_e64 v8, 0, 1, vcc_lo
	v_cmp_ne_u32_e32 vcc_lo, 0, v19
	s_delay_alu instid0(VALU_DEP_2)
	v_and_or_b32 v25, 0xffe, v13, v8
	s_wait_alu 0xfffd
	v_cndmask_b32_e64 v19, 0, 1, vcc_lo
	v_cmp_gt_i32_e32 vcc_lo, 31, v23
	v_sub_nc_u32_e32 v8, 0x3f1, v24
	v_or_b32_e32 v26, 0x1000, v25
	s_delay_alu instid0(VALU_DEP_4)
	v_lshl_or_b32 v13, v19, 9, 0x7c00
	s_wait_alu 0xfffd
	v_cndmask_b32_e32 v1, 0x7c00, v1, vcc_lo
	v_med3_i32 v8, v8, 0, 13
	v_cmp_eq_u32_e32 vcc_lo, 0x40f, v21
	v_mad_co_u64_u32 v[19:20], null, s4, v0, 0
	s_delay_alu instid0(VALU_DEP_3)
	v_lshrrev_b32_e32 v21, v8, v26
	s_wait_alu 0xfffd
	v_cndmask_b32_e32 v3, v3, v10, vcc_lo
	v_cmp_eq_u32_e32 vcc_lo, 0x40f, v23
	s_wait_alu 0xfffd
	v_dual_cndmask_b32 v10, v1, v13 :: v_dual_add_nc_u32 v23, 0xfffffc10, v24
	v_mov_b32_e32 v13, v16
	v_mov_b32_e32 v1, v20
	v_and_or_b32 v16, 0x8000, v2, v3
	v_lshlrev_b32_e32 v2, v8, v21
	v_and_or_b32 v10, 0x8000, v7, v10
	v_and_or_b32 v7, 0x1ff, v15, v14
	v_lshlrev_b64_e32 v[12:13], 2, v[12:13]
	v_and_b32_e32 v16, 0xffff, v16
	v_mad_co_u64_u32 v[0:1], null, s5, v0, v[1:2]
	v_mul_f16_e32 v1, v85, v5
	v_cmp_ne_u32_e32 vcc_lo, v2, v26
	v_mul_f64_e32 v[2:3], s[2:3], v[17:18]
	v_lshrrev_b32_e32 v17, 8, v15
	v_bfe_u32 v18, v15, 20, 11
	v_fma_f16 v1, v80, v22, -v1
	s_wait_alu 0xfffd
	v_cndmask_b32_e64 v5, 0, 1, vcc_lo
	v_cmp_ne_u32_e32 vcc_lo, 0, v7
	v_mov_b32_e32 v20, v0
	v_lshl_or_b32 v24, v10, 16, v16
	v_cvt_f32_f16_e32 v1, v1
	v_or_b32_e32 v0, v21, v5
	s_wait_alu 0xfffd
	v_cndmask_b32_e64 v14, 0, 1, vcc_lo
	v_lshl_or_b32 v5, v23, 12, v25
	v_cmp_gt_i32_e32 vcc_lo, 1, v23
	v_cvt_f64_f32_e32 v[7:8], v1
	v_lshrrev_b32_e32 v15, 16, v15
	v_and_or_b32 v14, 0xffe, v17, v14
	v_sub_nc_u32_e32 v17, 0x3f1, v18
	s_wait_alu 0xfffd
	v_cndmask_b32_e32 v5, v5, v0, vcc_lo
	ds_load_2addr_stride64_b32 v[0:1], v53 offset0:64 offset1:72
	v_add_nc_u32_e32 v18, 0xfffffc10, v18
	v_or_b32_e32 v22, 0x1000, v14
	v_med3_i32 v17, v17, 0, 13
	v_and_b32_e32 v21, 7, v5
	v_lshrrev_b32_e32 v5, 2, v5
	s_delay_alu instid0(VALU_DEP_3) | instskip(NEXT) | instid1(VALU_DEP_3)
	v_lshrrev_b32_e32 v10, v17, v22
	v_cmp_lt_i32_e32 vcc_lo, 5, v21
	v_cmp_eq_u32_e64 s0, 3, v21
	v_add_co_u32 v21, s1, s8, v12
	s_delay_alu instid0(VALU_DEP_4)
	v_lshlrev_b32_e32 v16, v17, v10
	s_wait_alu 0xf1ff
	v_add_co_ci_u32_e64 v26, s1, s9, v13, s1
	s_or_b32 vcc_lo, s0, vcc_lo
	v_lshlrev_b64_e32 v[12:13], 2, v[19:20]
	s_wait_alu 0xfffe
	v_add_co_ci_u32_e32 v5, vcc_lo, 0, v5, vcc_lo
	v_cmp_ne_u32_e32 vcc_lo, v16, v22
	s_wait_dscnt 0x0
	v_lshrrev_b32_e32 v19, 16, v1
	v_and_or_b32 v2, 0x1ff, v3, v2
	v_lshrrev_b32_e32 v27, 8, v3
	v_bfe_u32 v28, v3, 20, 11
	s_wait_alu 0xfffd
	v_cndmask_b32_e64 v16, 0, 1, vcc_lo
	v_cmp_ne_u32_e32 vcc_lo, 0, v25
	v_mul_f16_e32 v20, v84, v19
	v_lshl_or_b32 v25, v18, 12, v14
	v_lshrrev_b32_e32 v3, 16, v3
	v_or_b32_e32 v10, v10, v16
	s_wait_alu 0xfffd
	v_cndmask_b32_e64 v22, 0, 1, vcc_lo
	v_cmp_ne_u32_e32 vcc_lo, 0, v2
	v_fmac_f16_e32 v20, v78, v1
	v_mul_f64_e32 v[16:17], s[2:3], v[7:8]
	v_mul_f16_e32 v1, v84, v1
	s_wait_alu 0xfffd
	v_cndmask_b32_e64 v2, 0, 1, vcc_lo
	v_cmp_gt_i32_e32 vcc_lo, 1, v18
	v_cvt_f32_f16_e32 v7, v20
	v_fma_f16 v1, v78, v19, -v1
	s_wait_alu 0xfffd
	v_cndmask_b32_e32 v20, v25, v10, vcc_lo
	v_cmp_gt_i32_e32 vcc_lo, 31, v23
	v_and_or_b32 v25, 0xffe, v27, v2
	v_sub_nc_u32_e32 v2, 0x3f1, v28
	v_cvt_f64_f32_e32 v[7:8], v7
	v_lshl_or_b32 v10, v22, 9, 0x7c00
	s_wait_alu 0xfffd
	v_dual_cndmask_b32 v5, 0x7c00, v5 :: v_dual_and_b32 v22, 7, v20
	v_cmp_eq_u32_e32 vcc_lo, 0x40f, v23
	v_or_b32_e32 v27, 0x1000, v25
	v_med3_i32 v2, v2, 0, 13
	v_lshrrev_b32_e32 v23, 16, v9
	v_cmp_eq_u32_e64 s0, 3, v22
	s_wait_alu 0xfffd
	v_cndmask_b32_e32 v5, v5, v10, vcc_lo
	v_cmp_lt_i32_e32 vcc_lo, 5, v22
	v_add_co_u32 v9, s1, v21, v12
	v_lshrrev_b32_e32 v12, 2, v20
	v_lshrrev_b32_e32 v22, v2, v27
	s_or_b32 vcc_lo, s0, vcc_lo
	v_add_co_ci_u32_e64 v10, s1, v26, v13, s1
	s_wait_alu 0xfffe
	v_add_co_ci_u32_e32 v12, vcc_lo, 0, v12, vcc_lo
	v_lshlrev_b32_e32 v2, v2, v22
	v_cmp_ne_u32_e32 vcc_lo, 0, v14
	v_cvt_f32_f16_e32 v1, v1
	v_add_nc_u32_e32 v20, 0xfffffc10, v28
	v_and_or_b32 v5, 0x8000, v23, v5
	global_store_b32 v[9:10], v24, off
	s_wait_alu 0xfffd
	v_cndmask_b32_e64 v13, 0, 1, vcc_lo
	v_cmp_ne_u32_e32 vcc_lo, v2, v27
	v_cmp_eq_u32_e64 s1, 0x40f, v20
	v_and_b32_e32 v5, 0xffff, v5
	s_wait_alu 0xfffd
	v_cndmask_b32_e64 v2, 0, 1, vcc_lo
	v_cmp_gt_i32_e32 vcc_lo, 31, v18
	s_delay_alu instid0(VALU_DEP_2)
	v_or_b32_e32 v19, v22, v2
	s_wait_alu 0xfffd
	v_cndmask_b32_e32 v14, 0x7c00, v12, vcc_lo
	v_and_or_b32 v12, 0x1ff, v17, v16
	v_lshl_or_b32 v16, v13, 9, 0x7c00
	v_cvt_f64_f32_e32 v[1:2], v1
	v_bfe_u32 v22, v17, 20, 11
	s_delay_alu instid0(VALU_DEP_4)
	v_cmp_ne_u32_e32 vcc_lo, 0, v12
	v_mul_f64_e32 v[12:13], s[2:3], v[7:8]
	v_lshrrev_b32_e32 v7, 8, v17
	v_lshl_or_b32 v8, v20, 12, v25
	s_wait_alu 0xfffd
	v_cndmask_b32_e64 v21, 0, 1, vcc_lo
	v_cmp_eq_u32_e32 vcc_lo, 0x40f, v18
	v_sub_nc_u32_e32 v18, 0x3f1, v22
	s_wait_alu 0xfffd
	v_cndmask_b32_e32 v14, v14, v16, vcc_lo
	v_cmp_gt_i32_e32 vcc_lo, 1, v20
	v_and_or_b32 v16, 0xffe, v7, v21
	v_med3_i32 v18, v18, 0, 13
	s_delay_alu instid0(VALU_DEP_4)
	v_and_or_b32 v14, 0x8000, v15, v14
	s_wait_alu 0xfffd
	v_cndmask_b32_e32 v19, v8, v19, vcc_lo
	v_or_b32_e32 v21, 0x1000, v16
	ds_load_2addr_stride64_b32 v[7:8], v53 offset0:96 offset1:104
	v_lshl_or_b32 v5, v14, 16, v5
	v_and_b32_e32 v23, 7, v19
	v_lshrrev_b32_e32 v15, v18, v21
	v_lshrrev_b32_e32 v14, 2, v19
	v_add_nc_u32_e32 v19, 0xfffffc10, v22
	s_delay_alu instid0(VALU_DEP_4) | instskip(SKIP_2) | instid1(VALU_DEP_4)
	v_cmp_lt_i32_e32 vcc_lo, 5, v23
	v_cmp_eq_u32_e64 s0, 3, v23
	v_lshlrev_b32_e32 v18, v18, v15
	v_lshl_or_b32 v23, v19, 12, v16
	s_delay_alu instid0(VALU_DEP_3)
	s_or_b32 vcc_lo, s0, vcc_lo
	s_wait_alu 0xfffe
	v_add_co_ci_u32_e32 v14, vcc_lo, 0, v14, vcc_lo
	v_cmp_ne_u32_e32 vcc_lo, v18, v21
	s_wait_dscnt 0x0
	v_lshrrev_b32_e32 v21, 16, v7
	v_and_or_b32 v12, 0x1ff, v13, v12
	s_wait_alu 0xfffd
	v_cndmask_b32_e64 v18, 0, 1, vcc_lo
	v_cmp_gt_i32_e32 vcc_lo, 31, v20
	v_mul_f16_e32 v24, v81, v21
	s_delay_alu instid0(VALU_DEP_3)
	v_or_b32_e32 v18, v15, v18
	s_wait_alu 0xfffd
	v_cndmask_b32_e32 v22, 0x7c00, v14, vcc_lo
	v_cmp_gt_i32_e32 vcc_lo, 1, v19
	v_mul_f64_e32 v[14:15], s[2:3], v[1:2]
	v_fmac_f16_e32 v24, v76, v7
	v_lshrrev_b32_e32 v2, 8, v13
	v_mul_f16_e32 v7, v81, v7
	s_wait_alu 0xfffd
	v_cndmask_b32_e32 v18, v23, v18, vcc_lo
	v_cmp_ne_u32_e32 vcc_lo, 0, v12
	v_bfe_u32 v12, v13, 20, 11
	v_cvt_f32_f16_e32 v23, v24
	v_fma_f16 v7, v76, v21, -v7
	v_lshrrev_b32_e32 v13, 16, v13
	s_wait_alu 0xfffd
	v_cndmask_b32_e64 v1, 0, 1, vcc_lo
	v_cmp_ne_u32_e32 vcc_lo, 0, v25
	v_and_b32_e32 v25, 7, v18
	v_sub_nc_u32_e32 v27, 0x3f1, v12
	v_lshrrev_b32_e32 v18, 2, v18
	v_and_or_b32 v26, 0xffe, v2, v1
	s_wait_alu 0xfffd
	v_cndmask_b32_e64 v24, 0, 1, vcc_lo
	v_cvt_f64_f32_e32 v[1:2], v23
	v_cmp_lt_i32_e32 vcc_lo, 5, v25
	v_cmp_eq_u32_e64 s0, 3, v25
	v_med3_i32 v25, v27, 0, 13
	v_lshl_or_b32 v23, v24, 9, 0x7c00
	v_or_b32_e32 v24, 0x1000, v26
	v_add_nc_u32_e32 v12, 0xfffffc10, v12
	s_or_b32 vcc_lo, s0, vcc_lo
	v_cvt_f32_f16_e32 v7, v7
	s_wait_alu 0xfffe
	v_add_co_ci_u32_e32 v18, vcc_lo, 0, v18, vcc_lo
	v_cndmask_b32_e64 v20, v22, v23, s1
	v_lshrrev_b32_e32 v22, v25, v24
	v_cmp_ne_u32_e32 vcc_lo, 0, v16
	s_delay_alu instid0(VALU_DEP_3) | instskip(NEXT) | instid1(VALU_DEP_3)
	v_and_or_b32 v3, 0x8000, v3, v20
	v_lshlrev_b32_e32 v23, v25, v22
	s_wait_alu 0xfffd
	v_cndmask_b32_e64 v16, 0, 1, vcc_lo
	v_cmp_gt_i32_e32 vcc_lo, 31, v19
	v_and_or_b32 v14, 0x1ff, v15, v14
	v_and_b32_e32 v3, 0xffff, v3
	s_delay_alu instid0(VALU_DEP_4)
	v_lshl_or_b32 v16, v16, 9, 0x7c00
	s_wait_alu 0xfffd
	v_cndmask_b32_e32 v18, 0x7c00, v18, vcc_lo
	v_cmp_ne_u32_e32 vcc_lo, v23, v24
	s_wait_alu 0xfffd
	v_cndmask_b32_e64 v20, 0, 1, vcc_lo
	v_cmp_eq_u32_e32 vcc_lo, 0x40f, v19
	v_lshl_or_b32 v19, v12, 12, v26
	s_wait_alu 0xfffd
	v_cndmask_b32_e32 v16, v18, v16, vcc_lo
	v_cmp_ne_u32_e32 vcc_lo, 0, v14
	v_or_b32_e32 v18, v22, v20
	v_lshrrev_b32_e32 v20, 8, v15
	v_bfe_u32 v22, v15, 20, 11
	s_wait_alu 0xfffd
	v_cndmask_b32_e64 v14, 0, 1, vcc_lo
	v_cmp_gt_i32_e32 vcc_lo, 1, v12
	s_delay_alu instid0(VALU_DEP_2)
	v_and_or_b32 v14, 0xffe, v20, v14
	s_wait_alu 0xfffd
	v_cndmask_b32_e32 v23, v19, v18, vcc_lo
	v_mul_f64_e32 v[18:19], s[2:3], v[1:2]
	v_sub_nc_u32_e32 v1, 0x3f1, v22
	v_cvt_f64_f32_e32 v[20:21], v7
	v_lshrrev_b32_e32 v7, 16, v17
	v_or_b32_e32 v24, 0x1000, v14
	v_and_b32_e32 v17, 7, v23
	v_med3_i32 v25, v1, 0, 13
	v_add_co_u32 v9, vcc_lo, v9, s6
	s_wait_alu 0xfffd
	v_add_co_ci_u32_e32 v10, vcc_lo, s7, v10, vcc_lo
	v_and_or_b32 v7, 0x8000, v7, v16
	v_lshrrev_b32_e32 v16, v25, v24
	v_cmp_lt_i32_e32 vcc_lo, 5, v17
	v_cmp_eq_u32_e64 s0, 3, v17
	global_store_b32 v[9:10], v5, off
	v_lshrrev_b32_e32 v5, 2, v23
	v_lshlrev_b32_e32 v17, v25, v16
	ds_load_2addr_stride64_b32 v[1:2], v53 offset0:112 offset1:120
	s_or_b32 vcc_lo, s0, vcc_lo
	v_lshl_or_b32 v7, v7, 16, v3
	s_wait_alu 0xfffe
	v_add_co_ci_u32_e32 v3, vcc_lo, 0, v5, vcc_lo
	v_cmp_ne_u32_e32 vcc_lo, v17, v24
	v_add_nc_u32_e32 v22, 0xfffffc10, v22
	s_wait_alu 0xfffd
	v_cndmask_b32_e64 v5, 0, 1, vcc_lo
	v_cmp_gt_i32_e32 vcc_lo, 31, v12
	s_delay_alu instid0(VALU_DEP_2)
	v_or_b32_e32 v5, v16, v5
	s_wait_alu 0xfffd
	v_cndmask_b32_e32 v3, 0x7c00, v3, vcc_lo
	v_cmp_ne_u32_e32 vcc_lo, 0, v26
	v_lshl_or_b32 v16, v22, 12, v14
	s_wait_dscnt 0x0
	v_lshrrev_b32_e32 v23, 16, v2
	v_and_or_b32 v18, 0x1ff, v19, v18
	s_wait_alu 0xfffd
	v_cndmask_b32_e64 v17, 0, 1, vcc_lo
	v_cmp_gt_i32_e32 vcc_lo, 1, v22
	v_bfe_u32 v27, v19, 20, 11
	v_mul_f16_e32 v24, v79, v23
	s_delay_alu instid0(VALU_DEP_4)
	v_lshl_or_b32 v25, v17, 9, 0x7c00
	s_wait_alu 0xfffd
	v_cndmask_b32_e32 v5, v16, v5, vcc_lo
	v_mul_f64_e32 v[16:17], s[2:3], v[20:21]
	v_cmp_ne_u32_e32 vcc_lo, 0, v18
	v_fmac_f16_e32 v24, v74, v2
	v_mul_f16_e32 v2, v79, v2
	v_and_b32_e32 v26, 7, v5
	v_lshrrev_b32_e32 v5, 2, v5
	s_wait_alu 0xfffd
	v_cndmask_b32_e64 v18, 0, 1, vcc_lo
	v_cmp_eq_u32_e32 vcc_lo, 0x40f, v12
	v_cvt_f32_f16_e32 v20, v24
	v_lshrrev_b32_e32 v24, 8, v19
	v_cmp_eq_u32_e64 s0, 3, v26
	v_fma_f16 v2, v74, v23, -v2
	s_wait_alu 0xfffd
	v_cndmask_b32_e32 v12, v3, v25, vcc_lo
	v_cmp_lt_i32_e32 vcc_lo, 5, v26
	v_cvt_f64_f32_e32 v[20:21], v20
	v_and_or_b32 v18, 0xffe, v24, v18
	v_sub_nc_u32_e32 v3, 0x3f1, v27
	v_cvt_f32_f16_e32 v2, v2
	s_or_b32 vcc_lo, s0, vcc_lo
	v_and_or_b32 v12, 0x8000, v13, v12
	s_wait_alu 0xfffe
	v_add_co_ci_u32_e32 v5, vcc_lo, 0, v5, vcc_lo
	v_or_b32_e32 v24, 0x1000, v18
	v_med3_i32 v3, v3, 0, 13
	v_cmp_ne_u32_e32 vcc_lo, 0, v14
	s_delay_alu instid0(VALU_DEP_2) | instskip(SKIP_3) | instid1(VALU_DEP_3)
	v_lshrrev_b32_e32 v25, v3, v24
	s_wait_alu 0xfffd
	v_cndmask_b32_e64 v14, 0, 1, vcc_lo
	v_cmp_gt_i32_e32 vcc_lo, 31, v22
	v_lshlrev_b32_e32 v23, v3, v25
	s_delay_alu instid0(VALU_DEP_3)
	v_lshl_or_b32 v14, v14, 9, 0x7c00
	s_wait_alu 0xfffd
	v_cndmask_b32_e32 v5, 0x7c00, v5, vcc_lo
	v_cmp_eq_u32_e32 vcc_lo, 0x40f, v22
	v_cvt_f64_f32_e32 v[2:3], v2
	v_and_or_b32 v16, 0x1ff, v17, v16
	s_wait_alu 0xfffd
	v_dual_cndmask_b32 v5, v5, v14 :: v_dual_add_nc_u32 v22, 0xfffffc10, v27
	v_cmp_ne_u32_e32 vcc_lo, v23, v24
	v_lshrrev_b32_e32 v14, 16, v15
	v_lshrrev_b32_e32 v23, 8, v17
	v_and_b32_e32 v24, 0xffff, v12
	s_wait_alu 0xfffd
	v_cndmask_b32_e64 v15, 0, 1, vcc_lo
	v_cmp_ne_u32_e32 vcc_lo, 0, v16
	v_and_or_b32 v5, 0x8000, v14, v5
	s_delay_alu instid0(VALU_DEP_3)
	v_or_b32_e32 v14, v25, v15
	s_wait_alu 0xfffd
	v_cndmask_b32_e64 v16, 0, 1, vcc_lo
	v_lshl_or_b32 v15, v22, 12, v18
	v_mul_f64_e32 v[12:13], s[2:3], v[20:21]
	v_cmp_gt_i32_e32 vcc_lo, 1, v22
	v_lshl_or_b32 v5, v5, 16, v24
	v_and_or_b32 v16, 0xffe, v23, v16
	v_bfe_u32 v23, v17, 20, 11
	s_wait_alu 0xfffd
	v_cndmask_b32_e32 v25, v15, v14, vcc_lo
	v_add_co_u32 v14, vcc_lo, v9, s6
	s_delay_alu instid0(VALU_DEP_3)
	v_sub_nc_u32_e32 v20, 0x3f1, v23
	s_wait_alu 0xfffd
	v_add_co_ci_u32_e32 v15, vcc_lo, s7, v10, vcc_lo
	v_or_b32_e32 v26, 0x1000, v16
	v_and_b32_e32 v24, 7, v25
	v_med3_i32 v27, v20, 0, 13
	v_add_co_u32 v20, vcc_lo, v14, s6
	s_wait_alu 0xfffd
	v_add_co_ci_u32_e32 v21, vcc_lo, s7, v15, vcc_lo
	ds_load_2addr_stride64_b32 v[9:10], v53 offset0:144 offset1:152
	global_store_b32 v[14:15], v7, off
	v_lshrrev_b32_e32 v7, v27, v26
	v_cmp_lt_i32_e32 vcc_lo, 5, v24
	v_cmp_eq_u32_e64 s0, 3, v24
	global_store_b32 v[20:21], v5, off
	v_lshrrev_b32_e32 v5, 2, v25
	v_lshlrev_b32_e32 v24, v27, v7
	v_mul_f64_e32 v[14:15], s[2:3], v[2:3]
	s_or_b32 vcc_lo, s0, vcc_lo
	s_wait_alu 0xfffe
	v_add_co_ci_u32_e32 v2, vcc_lo, 0, v5, vcc_lo
	v_cmp_ne_u32_e32 vcc_lo, v24, v26
	v_add_nc_u32_e32 v5, 0xfffffc10, v23
	s_wait_alu 0xfffd
	v_cndmask_b32_e64 v3, 0, 1, vcc_lo
	v_cmp_gt_i32_e32 vcc_lo, 31, v22
	s_wait_dscnt 0x0
	v_lshrrev_b32_e32 v23, 16, v9
	s_wait_alu 0xfffd
	v_cndmask_b32_e32 v24, 0x7c00, v2, vcc_lo
	v_cmp_ne_u32_e32 vcc_lo, 0, v18
	v_or_b32_e32 v2, v7, v3
	v_lshl_or_b32 v3, v5, 12, v16
	v_and_or_b32 v7, 0x1ff, v13, v12
	v_mul_f16_e32 v12, v77, v23
	s_wait_alu 0xfffd
	v_cndmask_b32_e64 v18, 0, 1, vcc_lo
	v_cmp_gt_i32_e32 vcc_lo, 1, v5
	s_delay_alu instid0(VALU_DEP_3) | instskip(NEXT) | instid1(VALU_DEP_3)
	v_fmac_f16_e32 v12, v73, v9
	v_lshl_or_b32 v18, v18, 9, 0x7c00
	s_wait_alu 0xfffd
	v_cndmask_b32_e32 v25, v3, v2, vcc_lo
	v_cmp_ne_u32_e32 vcc_lo, 0, v7
	v_lshrrev_b32_e32 v3, 8, v13
	v_cvt_f32_f16_e32 v12, v12
	v_bfe_u32 v7, v13, 20, 11
	v_and_b32_e32 v26, 7, v25
	s_wait_alu 0xfffd
	v_cndmask_b32_e64 v2, 0, 1, vcc_lo
	v_cmp_eq_u32_e32 vcc_lo, 0x40f, v22
	v_mul_f16_e32 v9, v77, v9
	v_sub_nc_u32_e32 v28, 0x3f1, v7
	v_cmp_eq_u32_e64 s0, 3, v26
	v_and_or_b32 v27, 0xffe, v3, v2
	v_cvt_f64_f32_e32 v[2:3], v12
	s_wait_alu 0xfffd
	v_cndmask_b32_e32 v12, v24, v18, vcc_lo
	v_cmp_lt_i32_e32 vcc_lo, 5, v26
	v_lshrrev_b32_e32 v24, 16, v19
	v_lshrrev_b32_e32 v19, 2, v25
	v_or_b32_e32 v22, 0x1000, v27
	v_med3_i32 v18, v28, 0, 13
	v_and_or_b32 v14, 0x1ff, v15, v14
	s_or_b32 vcc_lo, s0, vcc_lo
	v_fma_f16 v9, v73, v23, -v9
	s_wait_alu 0xfffe
	v_add_co_ci_u32_e32 v26, vcc_lo, 0, v19, vcc_lo
	v_lshrrev_b32_e32 v25, v18, v22
	v_cmp_ne_u32_e32 vcc_lo, 0, v14
	v_cvt_f32_f16_e32 v9, v9
	v_bfe_u32 v29, v15, 20, 11
	v_add_nc_u32_e32 v7, 0xfffffc10, v7
	v_lshlrev_b32_e32 v28, v18, v25
	s_wait_alu 0xfffd
	v_cndmask_b32_e64 v14, 0, 1, vcc_lo
	v_lshrrev_b32_e32 v18, 8, v15
	v_cmp_ne_u32_e32 vcc_lo, 0, v16
	v_sub_nc_u32_e32 v23, 0x3f1, v29
	v_and_or_b32 v12, 0x8000, v24, v12
	v_lshrrev_b32_e32 v13, 16, v13
	v_and_or_b32 v14, 0xffe, v18, v14
	v_cvt_f64_f32_e32 v[18:19], v9
	s_wait_alu 0xfffd
	v_cndmask_b32_e64 v16, 0, 1, vcc_lo
	v_cmp_ne_u32_e32 vcc_lo, v28, v22
	v_med3_i32 v30, v23, 0, 13
	v_or_b32_e32 v28, 0x1000, v14
	v_and_b32_e32 v12, 0xffff, v12
	v_lshl_or_b32 v16, v16, 9, 0x7c00
	s_wait_alu 0xfffd
	v_cndmask_b32_e64 v9, 0, 1, vcc_lo
	v_cmp_gt_i32_e32 vcc_lo, 31, v5
	v_lshrrev_b32_e32 v31, v30, v28
	s_delay_alu instid0(VALU_DEP_3)
	v_or_b32_e32 v9, v25, v9
	s_wait_alu 0xfffd
	v_cndmask_b32_e32 v26, 0x7c00, v26, vcc_lo
	v_lshl_or_b32 v25, v7, 12, v27
	v_cmp_gt_i32_e32 vcc_lo, 1, v7
	v_mul_f64_e32 v[22:23], s[2:3], v[2:3]
	ds_load_2addr_stride64_b32 v[2:3], v53 offset0:160 offset1:168
	s_wait_alu 0xfffd
	v_cndmask_b32_e32 v9, v25, v9, vcc_lo
	v_lshlrev_b32_e32 v25, v30, v31
	v_cmp_eq_u32_e32 vcc_lo, 0x40f, v5
	s_wait_alu 0xfffd
	v_cndmask_b32_e32 v5, v26, v16, vcc_lo
	v_lshrrev_b32_e32 v16, 16, v17
	v_and_b32_e32 v17, 7, v9
	v_cmp_ne_u32_e32 vcc_lo, v25, v28
	v_add_nc_u32_e32 v26, 0xfffffc10, v29
	v_lshrrev_b32_e32 v9, 2, v9
	v_and_or_b32 v5, 0x8000, v16, v5
	v_cmp_eq_u32_e64 s0, 3, v17
	s_wait_alu 0xfffd
	v_cndmask_b32_e64 v25, 0, 1, vcc_lo
	v_cmp_lt_i32_e32 vcc_lo, 5, v17
	v_lshl_or_b32 v24, v26, 12, v14
	v_cmp_gt_i32_e64 s1, 1, v26
	v_lshl_or_b32 v5, v5, 16, v12
	v_or_b32_e32 v16, v31, v25
	s_or_b32 vcc_lo, s0, vcc_lo
	s_wait_alu 0xfffe
	v_add_co_ci_u32_e32 v9, vcc_lo, 0, v9, vcc_lo
	v_cmp_ne_u32_e32 vcc_lo, 0, v27
	v_cndmask_b32_e64 v24, v24, v16, s1
	v_mul_f64_e32 v[16:17], s[2:3], v[18:19]
	s_wait_dscnt 0x0
	v_lshrrev_b32_e32 v27, 16, v3
	v_cmp_eq_u32_e64 s1, 0x40f, v7
	s_wait_alu 0xfffd
	v_cndmask_b32_e64 v25, 0, 1, vcc_lo
	v_cmp_gt_i32_e32 vcc_lo, 31, v7
	v_and_b32_e32 v18, 7, v24
	s_delay_alu instid0(VALU_DEP_3) | instskip(SKIP_2) | instid1(VALU_DEP_3)
	v_lshl_or_b32 v19, v25, 9, 0x7c00
	s_wait_alu 0xfffd
	v_cndmask_b32_e32 v9, 0x7c00, v9, vcc_lo
	v_cmp_lt_i32_e32 vcc_lo, 5, v18
	v_cmp_eq_u32_e64 s0, 3, v18
	v_mul_f16_e32 v18, v75, v27
	v_bfe_u32 v25, v23, 20, 11
	s_wait_alu 0xf1ff
	v_cndmask_b32_e64 v7, v9, v19, s1
	v_lshrrev_b32_e32 v9, 2, v24
	v_and_or_b32 v19, 0x1ff, v23, v22
	v_fmac_f16_e32 v18, v70, v3
	s_or_b32 vcc_lo, s0, vcc_lo
	v_lshrrev_b32_e32 v24, 8, v23
	s_wait_alu 0xfffe
	v_add_co_ci_u32_e32 v9, vcc_lo, 0, v9, vcc_lo
	v_cmp_ne_u32_e32 vcc_lo, 0, v19
	v_cvt_f32_f16_e32 v18, v18
	v_and_or_b32 v7, 0x8000, v13, v7
	v_mul_f16_e32 v3, v75, v3
	v_lshrrev_b32_e32 v23, 16, v23
	s_wait_alu 0xfffd
	v_cndmask_b32_e64 v22, 0, 1, vcc_lo
	v_cmp_ne_u32_e32 vcc_lo, 0, v14
	v_cvt_f64_f32_e32 v[18:19], v18
	v_fma_f16 v3, v70, v27, -v3
	v_and_b32_e32 v7, 0xffff, v7
	v_and_or_b32 v22, 0xffe, v24, v22
	s_wait_alu 0xfffd
	v_cndmask_b32_e64 v14, 0, 1, vcc_lo
	v_sub_nc_u32_e32 v24, 0x3f1, v25
	v_cmp_gt_i32_e32 vcc_lo, 31, v26
	v_cvt_f32_f16_e32 v3, v3
	v_or_b32_e32 v28, 0x1000, v22
	v_lshl_or_b32 v14, v14, 9, 0x7c00
	v_med3_i32 v24, v24, 0, 13
	s_wait_alu 0xfffd
	v_cndmask_b32_e32 v9, 0x7c00, v9, vcc_lo
	v_cmp_eq_u32_e32 vcc_lo, 0x40f, v26
	v_and_or_b32 v12, 0x1ff, v17, v16
	v_bfe_u32 v16, v17, 20, 11
	s_wait_alu 0xfffd
	v_cndmask_b32_e32 v9, v9, v14, vcc_lo
	v_lshrrev_b32_e32 v14, 16, v15
	v_lshrrev_b32_e32 v15, v24, v28
	v_cmp_ne_u32_e32 vcc_lo, 0, v12
	s_delay_alu instid0(VALU_DEP_3) | instskip(NEXT) | instid1(VALU_DEP_3)
	v_and_or_b32 v9, 0x8000, v14, v9
	v_lshlrev_b32_e32 v13, v24, v15
	s_wait_alu 0xfffd
	v_cndmask_b32_e64 v12, 0, 1, vcc_lo
	v_lshrrev_b32_e32 v14, 8, v17
	v_add_nc_u32_e32 v24, 0xfffffc10, v25
	v_lshl_or_b32 v7, v9, 16, v7
	v_cmp_ne_u32_e32 vcc_lo, v13, v28
	s_delay_alu instid0(VALU_DEP_4)
	v_and_or_b32 v26, 0xffe, v14, v12
	v_sub_nc_u32_e32 v14, 0x3f1, v16
	v_lshl_or_b32 v25, v24, 12, v22
	s_wait_alu 0xfffd
	v_cndmask_b32_e64 v13, 0, 1, vcc_lo
	v_cmp_gt_i32_e32 vcc_lo, 1, v24
	v_or_b32_e32 v27, 0x1000, v26
	v_add_nc_u32_e32 v16, 0xfffffc10, v16
	s_delay_alu instid0(VALU_DEP_4) | instskip(SKIP_3) | instid1(VALU_DEP_3)
	v_or_b32_e32 v15, v15, v13
	v_cvt_f64_f32_e32 v[12:13], v3
	v_med3_i32 v3, v14, 0, 13
	s_wait_alu 0xfffd
	v_cndmask_b32_e32 v25, v25, v15, vcc_lo
	v_mul_f64_e32 v[14:15], s[2:3], v[18:19]
	v_add_co_u32 v18, vcc_lo, v20, s6
	v_lshrrev_b32_e32 v28, v3, v27
	s_wait_alu 0xfffd
	v_add_co_ci_u32_e32 v19, vcc_lo, s7, v21, vcc_lo
	v_and_b32_e32 v9, 7, v25
	v_add_co_u32 v20, vcc_lo, v18, s6
	v_lshlrev_b32_e32 v3, v3, v28
	s_wait_alu 0xfffd
	v_add_co_ci_u32_e32 v21, vcc_lo, s7, v19, vcc_lo
	v_cmp_lt_i32_e32 vcc_lo, 5, v9
	v_cmp_eq_u32_e64 s0, 3, v9
	v_lshrrev_b32_e32 v9, 2, v25
	v_cmp_ne_u32_e64 s1, v3, v27
	v_lshl_or_b32 v25, v16, 12, v26
	v_lshrrev_b32_e32 v27, 16, v11
	s_or_b32 vcc_lo, s0, vcc_lo
	global_store_b32 v[18:19], v5, off
	s_wait_alu 0xfffe
	v_add_co_ci_u32_e32 v9, vcc_lo, 0, v9, vcc_lo
	v_cndmask_b32_e64 v3, 0, 1, s1
	v_cmp_ne_u32_e32 vcc_lo, 0, v22
	s_delay_alu instid0(VALU_DEP_2)
	v_or_b32_e32 v3, v28, v3
	s_wait_alu 0xfffd
	v_cndmask_b32_e64 v22, 0, 1, vcc_lo
	v_cmp_gt_i32_e32 vcc_lo, 1, v16
	v_mul_f64_e32 v[12:13], s[2:3], v[12:13]
	s_wait_alu 0xfffd
	v_cndmask_b32_e32 v3, v25, v3, vcc_lo
	v_mul_f16_e32 v25, v72, v27
	v_cmp_gt_i32_e32 vcc_lo, 31, v24
	v_lshl_or_b32 v22, v22, 9, 0x7c00
	v_and_or_b32 v14, 0x1ff, v15, v14
	v_and_b32_e32 v28, 7, v3
	v_fmac_f16_e32 v25, v68, v11
	s_wait_alu 0xfffd
	v_cndmask_b32_e32 v9, 0x7c00, v9, vcc_lo
	v_cmp_eq_u32_e32 vcc_lo, 0x40f, v24
	v_cmp_ne_u32_e64 s1, 0, v14
	v_cmp_eq_u32_e64 s0, 3, v28
	v_lshrrev_b32_e32 v3, 2, v3
	v_mul_f16_e32 v11, v72, v11
	s_wait_alu 0xfffd
	v_cndmask_b32_e32 v9, v9, v22, vcc_lo
	v_cvt_f32_f16_e32 v22, v25
	v_cmp_lt_i32_e32 vcc_lo, 5, v28
	s_wait_alu 0xf1ff
	v_cndmask_b32_e64 v14, 0, 1, s1
	v_lshrrev_b32_e32 v28, 8, v15
	v_fma_f16 v11, v68, v27, -v11
	v_cvt_f64_f32_e32 v[24:25], v22
	v_bfe_u32 v22, v15, 20, 11
	s_or_b32 vcc_lo, s0, vcc_lo
	v_and_or_b32 v14, 0xffe, v28, v14
	s_wait_alu 0xfffe
	v_add_co_ci_u32_e32 v3, vcc_lo, 0, v3, vcc_lo
	v_sub_nc_u32_e32 v28, 0x3f1, v22
	v_cmp_ne_u32_e32 vcc_lo, 0, v26
	v_or_b32_e32 v29, 0x1000, v14
	v_cvt_f32_f16_e32 v11, v11
	v_and_or_b32 v9, 0x8000, v23, v9
	v_med3_i32 v28, v28, 0, 13
	s_wait_alu 0xfffd
	v_cndmask_b32_e64 v26, 0, 1, vcc_lo
	v_cmp_gt_i32_e32 vcc_lo, 31, v16
	v_and_b32_e32 v9, 0xffff, v9
	v_lshrrev_b32_e32 v27, v28, v29
	s_delay_alu instid0(VALU_DEP_4) | instskip(SKIP_4) | instid1(VALU_DEP_2)
	v_lshl_or_b32 v26, v26, 9, 0x7c00
	s_wait_alu 0xfffd
	v_cndmask_b32_e32 v3, 0x7c00, v3, vcc_lo
	v_cmp_eq_u32_e32 vcc_lo, 0x40f, v16
	s_wait_alu 0xfffd
	v_dual_cndmask_b32 v3, v3, v26 :: v_dual_lshlrev_b32 v28, v28, v27
	v_lshrrev_b32_e32 v26, 16, v17
	v_cvt_f64_f32_e32 v[16:17], v11
	v_and_or_b32 v11, 0x1ff, v13, v12
	s_delay_alu instid0(VALU_DEP_4)
	v_cmp_ne_u32_e32 vcc_lo, v28, v29
	v_bfe_u32 v28, v13, 20, 11
	v_and_or_b32 v3, 0x8000, v26, v3
	v_add_nc_u32_e32 v26, 0xfffffc10, v22
	v_lshrrev_b32_e32 v22, 8, v13
	s_wait_alu 0xfffd
	v_cndmask_b32_e64 v12, 0, 1, vcc_lo
	v_cmp_ne_u32_e32 vcc_lo, 0, v11
	v_lshl_or_b32 v3, v3, 16, v9
	v_lshrrev_b32_e32 v13, 16, v13
	s_delay_alu instid0(VALU_DEP_4) | instskip(SKIP_4) | instid1(VALU_DEP_3)
	v_or_b32_e32 v12, v27, v12
	s_wait_alu 0xfffd
	v_cndmask_b32_e64 v11, 0, 1, vcc_lo
	v_lshl_or_b32 v27, v26, 12, v14
	v_cmp_gt_i32_e32 vcc_lo, 1, v26
	v_and_or_b32 v29, 0xffe, v22, v11
	v_mul_f64_e32 v[22:23], s[2:3], v[24:25]
	v_sub_nc_u32_e32 v11, 0x3f1, v28
	s_wait_alu 0xfffd
	v_cndmask_b32_e32 v9, v27, v12, vcc_lo
	v_add_co_u32 v24, vcc_lo, v20, s6
	v_or_b32_e32 v27, 0x1000, v29
	v_med3_i32 v11, v11, 0, 13
	s_delay_alu instid0(VALU_DEP_4)
	v_and_b32_e32 v5, 7, v9
	s_wait_alu 0xfffd
	v_add_co_ci_u32_e32 v25, vcc_lo, s7, v21, vcc_lo
	global_store_b32 v[20:21], v7, off
	global_store_b32 v[24:25], v3, off
	v_lshrrev_b32_e32 v30, v11, v27
	v_cmp_lt_i32_e32 vcc_lo, 5, v5
	v_cmp_eq_u32_e64 s0, 3, v5
	v_lshrrev_b32_e32 v5, 2, v9
	v_add_nc_u32_e32 v7, 0xfffffc10, v28
	v_lshlrev_b32_e32 v3, v11, v30
	ds_load_2addr_stride64_b32 v[11:12], v53 offset0:32 offset1:40
	v_mul_f64_e32 v[16:17], s[2:3], v[16:17]
	s_or_b32 vcc_lo, s0, vcc_lo
	s_wait_alu 0xfffe
	v_add_co_ci_u32_e32 v5, vcc_lo, 0, v5, vcc_lo
	v_cmp_ne_u32_e64 s1, v3, v27
	v_cmp_ne_u32_e32 vcc_lo, 0, v14
	v_lshl_or_b32 v14, v7, 12, v29
	s_wait_alu 0xf1ff
	s_delay_alu instid0(VALU_DEP_3) | instskip(SKIP_3) | instid1(VALU_DEP_3)
	v_cndmask_b32_e64 v3, 0, 1, s1
	s_wait_alu 0xfffd
	v_cndmask_b32_e64 v9, 0, 1, vcc_lo
	v_cmp_gt_i32_e32 vcc_lo, 31, v26
	v_or_b32_e32 v3, v30, v3
	s_delay_alu instid0(VALU_DEP_3)
	v_lshl_or_b32 v9, v9, 9, 0x7c00
	s_wait_alu 0xfffd
	v_cndmask_b32_e32 v5, 0x7c00, v5, vcc_lo
	v_cmp_gt_i32_e32 vcc_lo, 1, v7
	s_wait_dscnt 0x0
	v_lshrrev_b32_e32 v18, 16, v11
	v_lshrrev_b32_e32 v20, 8, v23
	v_bfe_u32 v21, v23, 20, 11
	s_wait_alu 0xfffd
	v_cndmask_b32_e32 v3, v14, v3, vcc_lo
	v_and_or_b32 v14, 0x1ff, v23, v22
	v_cmp_eq_u32_e32 vcc_lo, 0x40f, v26
	v_mul_f16_e32 v19, v71, v18
	v_lshrrev_b32_e32 v22, 16, v15
	s_wait_alu 0xfffd
	v_cndmask_b32_e32 v5, v5, v9, vcc_lo
	v_cmp_ne_u32_e32 vcc_lo, 0, v14
	v_and_b32_e32 v9, 7, v3
	v_fmac_f16_e32 v19, v66, v11
	v_lshrrev_b32_e32 v3, 2, v3
	v_mul_f16_e32 v11, v71, v11
	s_wait_alu 0xfffd
	v_cndmask_b32_e64 v14, 0, 1, vcc_lo
	v_cmp_lt_i32_e32 vcc_lo, 5, v9
	v_cmp_eq_u32_e64 s0, 3, v9
	v_cvt_f32_f16_e32 v15, v19
	v_and_or_b32 v16, 0x1ff, v17, v16
	v_and_or_b32 v20, 0xffe, v20, v14
	v_sub_nc_u32_e32 v14, 0x3f1, v21
	s_or_b32 vcc_lo, s0, vcc_lo
	v_fma_f16 v11, v66, v18, -v11
	s_wait_alu 0xfffe
	v_add_co_ci_u32_e32 v3, vcc_lo, 0, v3, vcc_lo
	v_or_b32_e32 v9, 0x1000, v20
	v_med3_i32 v19, v14, 0, 13
	v_cvt_f64_f32_e32 v[14:15], v15
	v_cmp_gt_i32_e32 vcc_lo, 31, v7
	v_lshrrev_b32_e32 v18, 8, v17
	v_bfe_u32 v28, v17, 20, 11
	v_lshrrev_b32_e32 v26, v19, v9
	v_cvt_f32_f16_e32 v11, v11
	s_wait_alu 0xfffd
	v_cndmask_b32_e32 v3, 0x7c00, v3, vcc_lo
	v_cmp_ne_u32_e32 vcc_lo, 0, v16
	v_sub_nc_u32_e32 v30, 0x3f1, v28
	v_lshlrev_b32_e32 v27, v19, v26
	v_and_or_b32 v5, 0x8000, v22, v5
	v_add_nc_u32_e32 v22, 0xfffffc10, v28
	s_wait_alu 0xfffd
	v_cndmask_b32_e64 v16, 0, 1, vcc_lo
	v_cmp_ne_u32_e32 vcc_lo, 0, v29
	v_and_b32_e32 v5, 0xffff, v5
	s_delay_alu instid0(VALU_DEP_3)
	v_and_or_b32 v16, 0xffe, v18, v16
	s_wait_alu 0xfffd
	v_cndmask_b32_e64 v29, 0, 1, vcc_lo
	v_cmp_ne_u32_e32 vcc_lo, v27, v9
	v_cvt_f64_f32_e32 v[18:19], v11
	v_add_nc_u32_e32 v11, 0xfffffc10, v21
	v_or_b32_e32 v27, 0x1000, v16
	v_lshl_or_b32 v21, v29, 9, 0x7c00
	s_wait_alu 0xfffd
	v_cndmask_b32_e64 v9, 0, 1, vcc_lo
	v_med3_i32 v29, v30, 0, 13
	v_cmp_eq_u32_e32 vcc_lo, 0x40f, v7
	v_cmp_eq_u32_e64 s1, 0x40f, v11
	s_delay_alu instid0(VALU_DEP_4)
	v_or_b32_e32 v9, v26, v9
	v_lshl_or_b32 v26, v11, 12, v20
	s_wait_alu 0xfffd
	v_cndmask_b32_e32 v3, v3, v21, vcc_lo
	v_lshrrev_b32_e32 v7, v29, v27
	v_cmp_gt_i32_e32 vcc_lo, 1, v11
	s_delay_alu instid0(VALU_DEP_3) | instskip(NEXT) | instid1(VALU_DEP_3)
	v_and_or_b32 v3, 0x8000, v13, v3
	v_lshlrev_b32_e32 v21, v29, v7
	s_wait_alu 0xfffd
	v_cndmask_b32_e32 v9, v26, v9, vcc_lo
	v_mul_f64_e32 v[14:15], s[2:3], v[14:15]
	v_lshrrev_b32_e32 v26, 16, v6
	v_lshl_or_b32 v3, v3, 16, v5
	v_cmp_ne_u32_e32 vcc_lo, v21, v27
	v_and_b32_e32 v13, 7, v9
	v_lshrrev_b32_e32 v9, 2, v9
	s_wait_alu 0xfffd
	v_cndmask_b32_e64 v21, 0, 1, vcc_lo
	s_delay_alu instid0(VALU_DEP_3) | instskip(SKIP_2) | instid1(VALU_DEP_4)
	v_cmp_lt_i32_e32 vcc_lo, 5, v13
	v_cmp_eq_u32_e64 s0, 3, v13
	v_lshl_or_b32 v13, v22, 12, v16
	v_or_b32_e32 v7, v7, v21
	s_delay_alu instid0(VALU_DEP_3)
	s_or_b32 vcc_lo, s0, vcc_lo
	s_wait_alu 0xfffe
	v_add_co_ci_u32_e32 v9, vcc_lo, 0, v9, vcc_lo
	v_cmp_gt_i32_e32 vcc_lo, 1, v22
	v_mul_f64_e32 v[18:19], s[2:3], v[18:19]
	s_wait_alu 0xfffd
	v_cndmask_b32_e32 v7, v13, v7, vcc_lo
	v_mul_f16_e32 v13, v69, v26
	v_cmp_ne_u32_e32 vcc_lo, 0, v20
	s_delay_alu instid0(VALU_DEP_3) | instskip(NEXT) | instid1(VALU_DEP_3)
	v_and_b32_e32 v21, 7, v7
	v_fmac_f16_e32 v13, v64, v6
	s_wait_alu 0xfffd
	v_cndmask_b32_e64 v20, 0, 1, vcc_lo
	v_cmp_gt_i32_e32 vcc_lo, 31, v11
	v_lshrrev_b32_e32 v7, 2, v7
	v_cmp_eq_u32_e64 s0, 3, v21
	v_cvt_f32_f16_e32 v13, v13
	v_lshl_or_b32 v20, v20, 9, 0x7c00
	s_wait_alu 0xfffd
	v_cndmask_b32_e32 v9, 0x7c00, v9, vcc_lo
	v_cmp_lt_i32_e32 vcc_lo, 5, v21
	v_bfe_u32 v27, v15, 20, 11
	v_mul_f16_e32 v6, v69, v6
	s_delay_alu instid0(VALU_DEP_4)
	v_cndmask_b32_e64 v9, v9, v20, s1
	v_cvt_f64_f32_e32 v[20:21], v13
	s_or_b32 vcc_lo, s0, vcc_lo
	v_and_or_b32 v13, 0x1ff, v15, v14
	s_wait_alu 0xfffe
	v_add_co_ci_u32_e32 v7, vcc_lo, 0, v7, vcc_lo
	v_cmp_ne_u32_e32 vcc_lo, 0, v16
	v_lshrrev_b32_e32 v16, 8, v15
	v_lshrrev_b32_e32 v14, 16, v23
	v_fma_f16 v6, v64, v26, -v6
	s_mul_i32 s0, s5, 0xffff6000
	s_wait_alu 0xfffd
	v_cndmask_b32_e64 v11, 0, 1, vcc_lo
	v_cmp_gt_i32_e32 vcc_lo, 31, v22
	v_and_or_b32 v9, 0x8000, v14, v9
	s_wait_alu 0xfffe
	s_sub_co_i32 s5, s0, s4
	v_lshl_or_b32 v11, v11, 9, 0x7c00
	s_wait_alu 0xfffd
	v_cndmask_b32_e32 v7, 0x7c00, v7, vcc_lo
	v_cmp_ne_u32_e32 vcc_lo, 0, v13
	v_bfe_u32 v26, v19, 20, 11
	s_wait_alu 0xfffd
	v_cndmask_b32_e64 v13, 0, 1, vcc_lo
	v_cmp_eq_u32_e32 vcc_lo, 0x40f, v22
	s_delay_alu instid0(VALU_DEP_2)
	v_and_or_b32 v28, 0xffe, v16, v13
	s_wait_alu 0xfffd
	v_cndmask_b32_e32 v7, v7, v11, vcc_lo
	v_lshrrev_b32_e32 v11, 16, v17
	v_sub_nc_u32_e32 v13, 0x3f1, v27
	v_add_co_u32 v16, vcc_lo, v24, s6
	s_wait_alu 0xfffd
	v_add_co_ci_u32_e32 v17, vcc_lo, s7, v25, vcc_lo
	v_and_or_b32 v5, 0x8000, v11, v7
	v_med3_i32 v11, v13, 0, 13
	v_and_or_b32 v13, 0x1ff, v19, v18
	v_and_b32_e32 v7, 0xffff, v9
	v_or_b32_e32 v9, 0x1000, v28
	v_mul_f64_e32 v[20:21], s[2:3], v[20:21]
	v_lshrrev_b32_e32 v25, 8, v19
	v_cmp_ne_u32_e32 vcc_lo, 0, v13
	v_cvt_f32_f16_e32 v13, v6
	v_lshrrev_b32_e32 v18, v11, v9
	v_lshl_or_b32 v7, v5, 16, v7
	ds_load_2addr_stride64_b32 v[5:6], v53 offset0:80 offset1:88
	s_wait_alu 0xfffd
	v_cndmask_b32_e64 v24, 0, 1, vcc_lo
	v_cvt_f64_f32_e32 v[22:23], v13
	v_lshlrev_b32_e32 v11, v11, v18
	v_mad_co_u64_u32 v[13:14], null, 0xffff6000, s4, v[16:17]
	s_delay_alu instid0(VALU_DEP_4) | instskip(SKIP_1) | instid1(VALU_DEP_4)
	v_and_or_b32 v24, 0xffe, v25, v24
	v_sub_nc_u32_e32 v25, 0x3f1, v26
	v_cmp_ne_u32_e32 vcc_lo, v11, v9
	v_add_nc_u32_e32 v11, 0xfffffc10, v27
	s_delay_alu instid0(VALU_DEP_4) | instskip(NEXT) | instid1(VALU_DEP_4)
	v_or_b32_e32 v27, 0x1000, v24
	v_med3_i32 v25, v25, 0, 13
	s_wait_alu 0xfffd
	v_cndmask_b32_e64 v9, 0, 1, vcc_lo
	v_cmp_gt_i32_e32 vcc_lo, 1, v11
	s_wait_alu 0xfffe
	v_add_nc_u32_e32 v14, s5, v14
	global_store_b32 v[16:17], v3, off
	global_store_b32 v[13:14], v7, off
	v_lshrrev_b32_e32 v29, v25, v27
	v_or_b32_e32 v9, v18, v9
	v_lshl_or_b32 v18, v11, 12, v28
	s_delay_alu instid0(VALU_DEP_3) | instskip(SKIP_1) | instid1(VALU_DEP_2)
	v_lshlrev_b32_e32 v25, v25, v29
	s_wait_alu 0xfffd
	v_cndmask_b32_e32 v9, v18, v9, vcc_lo
	s_wait_dscnt 0x0
	v_lshrrev_b32_e32 v18, 16, v5
	v_cmp_ne_u32_e32 vcc_lo, v25, v27
	v_add_nc_u32_e32 v25, 0xfffffc10, v26
	v_and_b32_e32 v3, 7, v9
	s_delay_alu instid0(VALU_DEP_4)
	v_mul_f16_e32 v7, v67, v18
	v_and_or_b32 v20, 0x1ff, v21, v20
	s_wait_alu 0xfffd
	v_cndmask_b32_e64 v16, 0, 1, vcc_lo
	v_cmp_gt_i32_e64 s1, 1, v25
	v_cmp_lt_i32_e32 vcc_lo, 5, v3
	v_cmp_eq_u32_e64 s0, 3, v3
	v_fmac_f16_e32 v7, v62, v5
	v_or_b32_e32 v3, v29, v16
	v_lshl_or_b32 v16, v25, 12, v24
	v_lshrrev_b32_e32 v9, 2, v9
	s_or_b32 vcc_lo, s0, vcc_lo
	v_cvt_f32_f16_e32 v7, v7
	v_bfe_u32 v26, v21, 20, 11
	v_cndmask_b32_e64 v3, v16, v3, s1
	v_mul_f64_e32 v[16:17], s[2:3], v[22:23]
	v_cmp_ne_u32_e64 s1, 0, v20
	v_cvt_f64_f32_e32 v[22:23], v7
	v_lshrrev_b32_e32 v7, 8, v21
	s_wait_alu 0xfffe
	v_add_co_ci_u32_e32 v9, vcc_lo, 0, v9, vcc_lo
	s_wait_alu 0xf1ff
	v_cndmask_b32_e64 v20, 0, 1, s1
	v_and_b32_e32 v27, 7, v3
	v_cmp_ne_u32_e32 vcc_lo, 0, v28
	v_lshrrev_b32_e32 v3, 2, v3
	v_cmp_gt_i32_e64 s1, 31, v11
	v_and_or_b32 v7, 0xffe, v7, v20
	v_sub_nc_u32_e32 v20, 0x3f1, v26
	s_wait_alu 0xfffd
	v_cndmask_b32_e64 v28, 0, 1, vcc_lo
	v_cmp_lt_i32_e32 vcc_lo, 5, v27
	v_cmp_eq_u32_e64 s0, 3, v27
	v_or_b32_e32 v29, 0x1000, v7
	v_med3_i32 v20, v20, 0, 13
	s_wait_alu 0xf1ff
	v_cndmask_b32_e64 v9, 0x7c00, v9, s1
	v_lshl_or_b32 v28, v28, 9, 0x7c00
	s_or_b32 vcc_lo, s0, vcc_lo
	v_mul_f16_e32 v5, v67, v5
	s_wait_alu 0xfffe
	v_add_co_ci_u32_e32 v3, vcc_lo, 0, v3, vcc_lo
	v_lshrrev_b32_e32 v27, v20, v29
	v_cmp_eq_u32_e32 vcc_lo, 0x40f, v11
	v_lshrrev_b32_e32 v11, 16, v15
	v_fma_f16 v5, v62, v18, -v5
	s_wait_alu 0xfffd
	v_dual_cndmask_b32 v9, v9, v28 :: v_dual_lshlrev_b32 v20, v20, v27
	v_cmp_gt_i32_e32 vcc_lo, 31, v25
	s_delay_alu instid0(VALU_DEP_3) | instskip(NEXT) | instid1(VALU_DEP_3)
	v_cvt_f32_f16_e32 v5, v5
	v_and_or_b32 v9, 0x8000, v11, v9
	s_wait_alu 0xfffd
	v_cndmask_b32_e32 v3, 0x7c00, v3, vcc_lo
	v_cmp_ne_u32_e32 vcc_lo, v20, v29
	v_add_nc_u32_e32 v20, 0xfffffc10, v26
	v_and_or_b32 v26, 0x1ff, v17, v16
	v_and_b32_e32 v9, 0xffff, v9
	s_wait_alu 0xfffd
	v_cndmask_b32_e64 v15, 0, 1, vcc_lo
	v_cmp_ne_u32_e32 vcc_lo, 0, v24
	v_lshl_or_b32 v28, v20, 12, v7
	s_delay_alu instid0(VALU_DEP_3)
	v_or_b32_e32 v27, v27, v15
	s_wait_alu 0xfffd
	v_cndmask_b32_e64 v24, 0, 1, vcc_lo
	v_cmp_ne_u32_e32 vcc_lo, 0, v26
	v_mul_f64_e32 v[15:16], s[2:3], v[22:23]
	v_lshrrev_b32_e32 v22, 8, v17
	v_bfe_u32 v26, v17, 20, 11
	s_wait_alu 0xfffd
	v_cndmask_b32_e64 v18, 0, 1, vcc_lo
	v_cmp_gt_i32_e32 vcc_lo, 1, v20
	s_wait_alu 0xfffd
	v_cndmask_b32_e32 v27, v28, v27, vcc_lo
	s_delay_alu instid0(VALU_DEP_3)
	v_and_or_b32 v28, 0xffe, v22, v18
	v_sub_nc_u32_e32 v18, 0x3f1, v26
	v_cvt_f64_f32_e32 v[22:23], v5
	v_lshl_or_b32 v5, v24, 9, 0x7c00
	v_cmp_eq_u32_e32 vcc_lo, 0x40f, v25
	v_or_b32_e32 v29, 0x1000, v28
	v_med3_i32 v18, v18, 0, 13
	s_wait_alu 0xfffd
	v_dual_cndmask_b32 v3, v3, v5 :: v_dual_and_b32 v24, 7, v27
	v_lshrrev_b32_e32 v5, 16, v19
	s_delay_alu instid0(VALU_DEP_3) | instskip(NEXT) | instid1(VALU_DEP_3)
	v_lshrrev_b32_e32 v11, v18, v29
	v_cmp_lt_i32_e32 vcc_lo, 5, v24
	v_cmp_eq_u32_e64 s0, 3, v24
	v_lshrrev_b32_e32 v24, 16, v8
	v_and_or_b32 v3, 0x8000, v5, v3
	v_lshrrev_b32_e32 v5, 2, v27
	v_lshlrev_b32_e32 v18, v18, v11
	s_or_b32 vcc_lo, s0, vcc_lo
	v_mul_f16_e32 v25, v65, v24
	v_lshl_or_b32 v3, v3, 16, v9
	s_wait_alu 0xfffe
	v_add_co_ci_u32_e32 v5, vcc_lo, 0, v5, vcc_lo
	v_cmp_ne_u32_e32 vcc_lo, v18, v29
	v_add_nc_u32_e32 v9, 0xfffffc10, v26
	v_fmac_f16_e32 v25, v60, v8
	v_mul_f16_e32 v8, v65, v8
	v_and_or_b32 v15, 0x1ff, v16, v15
	s_wait_alu 0xfffd
	v_cndmask_b32_e64 v18, 0, 1, vcc_lo
	v_cmp_gt_i32_e32 vcc_lo, 31, v20
	v_lshrrev_b32_e32 v26, 8, v16
	v_bfe_u32 v27, v16, 20, 11
	v_fma_f16 v8, v60, v24, -v8
	v_or_b32_e32 v11, v11, v18
	s_wait_alu 0xfffd
	v_cndmask_b32_e32 v5, 0x7c00, v5, vcc_lo
	v_cmp_ne_u32_e32 vcc_lo, 0, v7
	v_lshl_or_b32 v18, v9, 12, v28
	v_cvt_f32_f16_e32 v8, v8
	v_lshrrev_b32_e32 v32, 16, v16
	s_wait_alu 0xfffd
	v_cndmask_b32_e64 v7, 0, 1, vcc_lo
	v_cmp_gt_i32_e32 vcc_lo, 1, v9
	s_delay_alu instid0(VALU_DEP_2)
	v_lshl_or_b32 v7, v7, 9, 0x7c00
	s_wait_alu 0xfffd
	v_cndmask_b32_e32 v11, v18, v11, vcc_lo
	v_cmp_ne_u32_e32 vcc_lo, 0, v15
	v_mul_f64_e32 v[18:19], s[2:3], v[22:23]
	v_cmp_eq_u32_e64 s1, 0x40f, v20
	v_cvt_f32_f16_e32 v23, v25
	v_and_b32_e32 v22, 7, v11
	s_wait_alu 0xfffd
	v_cndmask_b32_e64 v15, 0, 1, vcc_lo
	v_sub_nc_u32_e32 v25, 0x3f1, v27
	s_wait_alu 0xf1ff
	v_cndmask_b32_e64 v5, v5, v7, s1
	v_lshrrev_b32_e32 v7, 2, v11
	v_cmp_lt_i32_e32 vcc_lo, 5, v22
	v_and_or_b32 v15, 0xffe, v26, v15
	v_cmp_eq_u32_e64 s0, 3, v22
	v_med3_i32 v25, v25, 0, 13
	v_cvt_f64_f32_e32 v[22:23], v23
	v_lshrrev_b32_e32 v11, 16, v21
	v_or_b32_e32 v26, 0x1000, v15
	s_or_b32 vcc_lo, s0, vcc_lo
	s_wait_alu 0xfffe
	v_add_co_ci_u32_e32 v7, vcc_lo, 0, v7, vcc_lo
	s_delay_alu instid0(VALU_DEP_2) | instskip(SKIP_2) | instid1(VALU_DEP_3)
	v_lshrrev_b32_e32 v20, v25, v26
	v_cmp_ne_u32_e32 vcc_lo, 0, v28
	v_and_or_b32 v5, 0x8000, v11, v5
	v_lshlrev_b32_e32 v25, v25, v20
	s_wait_alu 0xfffd
	v_cndmask_b32_e64 v21, 0, 1, vcc_lo
	v_cmp_gt_i32_e32 vcc_lo, 31, v9
	v_and_b32_e32 v5, 0xffff, v5
	s_delay_alu instid0(VALU_DEP_3)
	v_lshl_or_b32 v21, v21, 9, 0x7c00
	s_wait_alu 0xfffd
	v_cndmask_b32_e32 v7, 0x7c00, v7, vcc_lo
	v_cmp_ne_u32_e32 vcc_lo, v25, v26
	v_add_nc_u32_e32 v25, 0xfffffc10, v27
	s_wait_alu 0xfffd
	v_cndmask_b32_e64 v24, 0, 1, vcc_lo
	v_cmp_eq_u32_e32 vcc_lo, 0x40f, v9
	v_lshrrev_b32_e32 v9, 16, v17
	v_and_or_b32 v18, 0x1ff, v19, v18
	s_delay_alu instid0(VALU_DEP_4)
	v_or_b32_e32 v17, v20, v24
	s_wait_alu 0xfffd
	v_cndmask_b32_e32 v7, v7, v21, vcc_lo
	v_cvt_f64_f32_e32 v[20:21], v8
	v_lshl_or_b32 v8, v25, 12, v15
	v_cmp_gt_i32_e32 vcc_lo, 1, v25
	v_bfe_u32 v24, v19, 20, 11
	v_and_or_b32 v9, 0x8000, v9, v7
	s_wait_alu 0xfffd
	v_cndmask_b32_e32 v11, v8, v17, vcc_lo
	v_cmp_ne_u32_e32 vcc_lo, 0, v18
	v_lshrrev_b32_e32 v8, 8, v19
	v_mul_f64_e32 v[17:18], s[2:3], v[22:23]
	v_sub_nc_u32_e32 v23, 0x3f1, v24
	v_and_b32_e32 v22, 7, v11
	s_wait_alu 0xfffd
	v_cndmask_b32_e64 v7, 0, 1, vcc_lo
	v_add_co_u32 v13, vcc_lo, v13, s6
	v_med3_i32 v28, v23, 0, 13
	s_wait_alu 0xfffd
	v_add_co_ci_u32_e32 v14, vcc_lo, s7, v14, vcc_lo
	v_and_or_b32 v26, 0xffe, v8, v7
	ds_load_2addr_stride64_b32 v[7:8], v53 offset0:128 offset1:136
	v_cmp_lt_i32_e32 vcc_lo, 5, v22
	v_cmp_eq_u32_e64 s0, 3, v22
	v_lshl_or_b32 v5, v9, 16, v5
	v_or_b32_e32 v27, 0x1000, v26
	v_lshrrev_b32_e32 v9, 2, v11
	v_add_co_u32 v22, s1, v13, s6
	s_or_b32 vcc_lo, s0, vcc_lo
	s_delay_alu instid0(VALU_DEP_3)
	v_lshrrev_b32_e32 v11, v28, v27
	s_wait_alu 0xfffe
	v_add_co_ci_u32_e32 v9, vcc_lo, 0, v9, vcc_lo
	v_cmp_ne_u32_e32 vcc_lo, 0, v15
	v_add_co_ci_u32_e64 v23, s1, s7, v14, s1
	v_lshlrev_b32_e32 v28, v28, v11
	global_store_b32 v[13:14], v3, off
	global_store_b32 v[22:23], v5, off
	s_wait_alu 0xfffd
	v_cndmask_b32_e64 v15, 0, 1, vcc_lo
	v_mul_f64_e32 v[20:21], s[2:3], v[20:21]
	v_cmp_ne_u32_e32 vcc_lo, v28, v27
	s_wait_dscnt 0x0
	v_lshrrev_b32_e32 v29, 16, v7
	v_lshl_or_b32 v15, v15, 9, 0x7c00
	s_wait_alu 0xfffd
	v_cndmask_b32_e64 v27, 0, 1, vcc_lo
	v_cmp_gt_i32_e32 vcc_lo, 31, v25
	v_and_or_b32 v17, 0x1ff, v18, v17
	v_bfe_u32 v30, v18, 20, 11
	s_delay_alu instid0(VALU_DEP_4)
	v_or_b32_e32 v11, v11, v27
	s_wait_alu 0xfffd
	v_cndmask_b32_e32 v9, 0x7c00, v9, vcc_lo
	v_cmp_eq_u32_e32 vcc_lo, 0x40f, v25
	v_add_nc_u32_e32 v28, 0xfffffc10, v24
	v_mul_f16_e32 v24, v63, v29
	s_wait_alu 0xfffd
	v_cndmask_b32_e32 v9, v9, v15, vcc_lo
	s_delay_alu instid0(VALU_DEP_3) | instskip(NEXT) | instid1(VALU_DEP_3)
	v_lshl_or_b32 v27, v28, 12, v26
	v_fmac_f16_e32 v24, v58, v7
	v_cmp_gt_i32_e32 vcc_lo, 1, v28
	v_mul_f16_e32 v7, v63, v7
	v_and_or_b32 v9, 0x8000, v32, v9
	s_delay_alu instid0(VALU_DEP_4)
	v_cvt_f32_f16_e32 v15, v24
	s_wait_alu 0xfffd
	v_cndmask_b32_e32 v11, v27, v11, vcc_lo
	v_cmp_ne_u32_e32 vcc_lo, 0, v17
	v_lshrrev_b32_e32 v27, 8, v18
	v_fma_f16 v7, v58, v29, -v7
	v_cvt_f64_f32_e32 v[24:25], v15
	v_sub_nc_u32_e32 v15, 0x3f1, v30
	v_add_nc_u32_e32 v30, 0xfffffc10, v30
	v_and_b32_e32 v31, 7, v11
	s_wait_alu 0xfffd
	v_cndmask_b32_e64 v17, 0, 1, vcc_lo
	v_lshrrev_b32_e32 v11, 2, v11
	v_med3_i32 v15, v15, 0, 13
	v_cvt_f32_f16_e32 v7, v7
	v_cmp_lt_i32_e32 vcc_lo, 5, v31
	v_cmp_eq_u32_e64 s0, 3, v31
	v_and_or_b32 v17, 0xffe, v27, v17
	v_and_or_b32 v20, 0x1ff, v21, v20
	v_lshrrev_b32_e32 v33, 8, v21
	v_and_b32_e32 v9, 0xffff, v9
	s_or_b32 vcc_lo, s0, vcc_lo
	v_or_b32_e32 v27, 0x1000, v17
	s_wait_alu 0xfffe
	v_add_co_ci_u32_e32 v11, vcc_lo, 0, v11, vcc_lo
	v_cmp_ne_u32_e32 vcc_lo, 0, v26
	s_delay_alu instid0(VALU_DEP_3) | instskip(SKIP_3) | instid1(VALU_DEP_3)
	v_lshrrev_b32_e32 v26, v15, v27
	s_wait_alu 0xfffd
	v_cndmask_b32_e64 v16, 0, 1, vcc_lo
	v_cmp_gt_i32_e32 vcc_lo, 31, v28
	v_lshlrev_b32_e32 v31, v15, v26
	s_delay_alu instid0(VALU_DEP_3)
	v_lshl_or_b32 v29, v16, 9, 0x7c00
	s_wait_alu 0xfffd
	v_cndmask_b32_e32 v11, 0x7c00, v11, vcc_lo
	v_cmp_ne_u32_e32 vcc_lo, 0, v20
	v_cvt_f64_f32_e32 v[15:16], v7
	v_bfe_u32 v7, v21, 20, 11
	v_lshrrev_b32_e32 v21, 16, v21
	s_wait_alu 0xfffd
	v_cndmask_b32_e64 v20, 0, 1, vcc_lo
	v_cmp_eq_u32_e32 vcc_lo, 0x40f, v28
	v_lshrrev_b32_e32 v28, 16, v19
	v_sub_nc_u32_e32 v19, 0x3f1, v7
	v_add_nc_u32_e32 v7, 0xfffffc10, v7
	s_wait_alu 0xfffd
	v_cndmask_b32_e32 v11, v11, v29, vcc_lo
	v_and_or_b32 v29, 0xffe, v33, v20
	v_cmp_ne_u32_e32 vcc_lo, v31, v27
	v_med3_i32 v33, v19, 0, 13
	v_mul_f64_e32 v[19:20], s[2:3], v[24:25]
	v_lshl_or_b32 v25, v30, 12, v17
	v_or_b32_e32 v31, 0x1000, v29
	s_wait_alu 0xfffd
	v_cndmask_b32_e64 v27, 0, 1, vcc_lo
	v_cmp_gt_i32_e32 vcc_lo, 1, v30
	v_and_or_b32 v11, 0x8000, v28, v11
	s_delay_alu instid0(VALU_DEP_3) | instskip(SKIP_1) | instid1(VALU_DEP_3)
	v_or_b32_e32 v24, v26, v27
	v_lshrrev_b32_e32 v26, v33, v31
	v_lshl_or_b32 v5, v11, 16, v9
	v_lshl_or_b32 v11, v7, 12, v29
	s_wait_alu 0xfffd
	v_cndmask_b32_e32 v24, v25, v24, vcc_lo
	v_lshlrev_b32_e32 v25, v33, v26
	s_delay_alu instid0(VALU_DEP_2) | instskip(NEXT) | instid1(VALU_DEP_2)
	v_and_b32_e32 v3, 7, v24
	v_cmp_ne_u32_e32 vcc_lo, v25, v31
	s_delay_alu instid0(VALU_DEP_2)
	v_cmp_eq_u32_e64 s0, 3, v3
	s_wait_alu 0xfffd
	v_cndmask_b32_e64 v9, 0, 1, vcc_lo
	v_cmp_lt_i32_e32 vcc_lo, 5, v3
	v_lshrrev_b32_e32 v3, 2, v24
	v_mul_f64_e32 v[13:14], s[2:3], v[15:16]
	v_lshrrev_b32_e32 v24, 16, v10
	v_or_b32_e32 v9, v26, v9
	s_or_b32 vcc_lo, s0, vcc_lo
	s_wait_alu 0xfffe
	v_add_co_ci_u32_e32 v3, vcc_lo, 0, v3, vcc_lo
	v_cmp_gt_i32_e32 vcc_lo, 1, v7
	v_and_or_b32 v19, 0x1ff, v20, v19
	s_wait_alu 0xfffd
	v_cndmask_b32_e32 v9, v11, v9, vcc_lo
	v_add_co_u32 v15, vcc_lo, v22, s6
	s_wait_alu 0xfffd
	v_add_co_ci_u32_e32 v16, vcc_lo, s7, v23, vcc_lo
	v_cmp_gt_i32_e32 vcc_lo, 31, v30
	v_mul_f16_e32 v11, v61, v24
	v_and_b32_e32 v25, 7, v9
	v_cmp_ne_u32_e64 s0, 0, v19
	v_lshrrev_b32_e32 v9, 2, v9
	s_wait_alu 0xfffd
	v_cndmask_b32_e32 v3, 0x7c00, v3, vcc_lo
	v_cmp_ne_u32_e32 vcc_lo, 0, v17
	v_fmac_f16_e32 v11, v57, v10
	s_wait_alu 0xf1ff
	v_cndmask_b32_e64 v19, 0, 1, s0
	v_cmp_eq_u32_e64 s0, 3, v25
	v_lshrrev_b32_e32 v26, 8, v20
	s_wait_alu 0xfffd
	v_cndmask_b32_e64 v17, 0, 1, vcc_lo
	v_cmp_lt_i32_e32 vcc_lo, 5, v25
	v_cvt_f32_f16_e32 v11, v11
	v_bfe_u32 v27, v20, 20, 11
	v_and_or_b32 v19, 0xffe, v26, v19
	v_mul_f16_e32 v10, v61, v10
	s_or_b32 vcc_lo, s0, vcc_lo
	v_cvt_f64_f32_e32 v[22:23], v11
	s_wait_alu 0xfffe
	v_add_co_ci_u32_e32 v9, vcc_lo, 0, v9, vcc_lo
	v_lshl_or_b32 v11, v17, 9, 0x7c00
	v_cmp_eq_u32_e32 vcc_lo, 0x40f, v30
	v_sub_nc_u32_e32 v17, 0x3f1, v27
	v_or_b32_e32 v25, 0x1000, v19
	v_and_or_b32 v13, 0x1ff, v14, v13
	v_fma_f16 v10, v57, v24, -v10
	s_wait_alu 0xfffd
	v_cndmask_b32_e32 v3, v3, v11, vcc_lo
	v_cmp_gt_i32_e32 vcc_lo, 31, v7
	v_med3_i32 v17, v17, 0, 13
	v_lshrrev_b32_e32 v11, 16, v18
	v_lshrrev_b32_e32 v18, 8, v14
	v_bfe_u32 v24, v14, 20, 11
	s_wait_alu 0xfffd
	v_cndmask_b32_e32 v26, 0x7c00, v9, vcc_lo
	v_cmp_ne_u32_e32 vcc_lo, 0, v29
	v_lshrrev_b32_e32 v9, v17, v25
	v_cvt_f32_f16_e32 v10, v10
	global_store_b32 v[15:16], v5, off
	v_and_or_b32 v3, 0x8000, v11, v3
	s_wait_alu 0xfffd
	v_cndmask_b32_e64 v28, 0, 1, vcc_lo
	v_cmp_ne_u32_e32 vcc_lo, 0, v13
	v_lshlrev_b32_e32 v17, v17, v9
	v_add_nc_u32_e32 v11, 0xfffffc10, v24
	v_and_b32_e32 v3, 0xffff, v3
	v_lshl_or_b32 v28, v28, 9, 0x7c00
	s_wait_alu 0xfffd
	v_cndmask_b32_e64 v13, 0, 1, vcc_lo
	v_cmp_ne_u32_e32 vcc_lo, v17, v25
	v_add_nc_u32_e32 v25, 0xfffffc10, v27
	v_sub_nc_u32_e32 v27, 0x3f1, v24
	v_lshrrev_b32_e32 v20, 16, v20
	v_and_or_b32 v13, 0xffe, v18, v13
	s_wait_alu 0xfffd
	v_cndmask_b32_e64 v17, 0, 1, vcc_lo
	v_lshl_or_b32 v29, v25, 12, v19
	v_med3_i32 v27, v27, 0, 13
	v_cmp_gt_i32_e32 vcc_lo, 1, v25
	v_or_b32_e32 v30, 0x1000, v13
	v_or_b32_e32 v9, v9, v17
	v_cvt_f64_f32_e32 v[17:18], v10
	v_mul_f64_e32 v[22:23], s[2:3], v[22:23]
	v_lshl_or_b32 v24, v11, 12, v13
	v_lshrrev_b32_e32 v31, v27, v30
	s_wait_alu 0xfffd
	v_cndmask_b32_e32 v29, v29, v9, vcc_lo
	v_cmp_eq_u32_e32 vcc_lo, 0x40f, v7
	ds_load_2addr_stride64_b32 v[9:10], v53 offset0:176 offset1:184
	v_lshlrev_b32_e32 v27, v27, v31
	s_wait_alu 0xfffd
	v_dual_cndmask_b32 v7, v26, v28 :: v_dual_and_b32 v26, 7, v29
	s_delay_alu instid0(VALU_DEP_2) | instskip(NEXT) | instid1(VALU_DEP_2)
	v_cmp_ne_u32_e64 s0, v27, v30
	v_and_or_b32 v5, 0x8000, v21, v7
	s_delay_alu instid0(VALU_DEP_3)
	v_cmp_lt_i32_e32 vcc_lo, 5, v26
	v_lshrrev_b32_e32 v21, 2, v29
	s_wait_alu 0xf1ff
	v_cndmask_b32_e64 v7, 0, 1, s0
	v_cmp_eq_u32_e64 s0, 3, v26
	v_lshl_or_b32 v5, v5, 16, v3
	s_delay_alu instid0(VALU_DEP_3) | instskip(NEXT) | instid1(VALU_DEP_3)
	v_or_b32_e32 v7, v31, v7
	s_or_b32 vcc_lo, s0, vcc_lo
	s_wait_alu 0xfffe
	v_add_co_ci_u32_e32 v21, vcc_lo, 0, v21, vcc_lo
	v_cmp_gt_i32_e32 vcc_lo, 1, v11
	s_wait_dscnt 0x0
	v_lshrrev_b32_e32 v26, 16, v9
	s_wait_alu 0xfffd
	v_cndmask_b32_e32 v7, v24, v7, vcc_lo
	v_cmp_ne_u32_e32 vcc_lo, 0, v19
	s_delay_alu instid0(VALU_DEP_3)
	v_mul_f16_e32 v24, v59, v26
	v_mul_f64_e32 v[17:18], s[2:3], v[17:18]
	s_wait_alu 0xfffd
	v_cndmask_b32_e64 v19, 0, 1, vcc_lo
	v_cmp_gt_i32_e32 vcc_lo, 31, v25
	v_and_or_b32 v22, 0x1ff, v23, v22
	v_fmac_f16_e32 v24, v55, v9
	v_lshrrev_b32_e32 v28, 8, v23
	v_bfe_u32 v29, v23, 20, 11
	s_wait_alu 0xfffd
	v_cndmask_b32_e32 v27, 0x7c00, v21, vcc_lo
	v_and_b32_e32 v21, 7, v7
	v_lshrrev_b32_e32 v7, 2, v7
	v_cmp_ne_u32_e64 s1, 0, v22
	v_lshl_or_b32 v19, v19, 9, 0x7c00
	v_mul_f16_e32 v9, v59, v9
	v_cmp_lt_i32_e32 vcc_lo, 5, v21
	v_cmp_eq_u32_e64 s0, 3, v21
	v_cvt_f32_f16_e32 v21, v24
	s_wait_alu 0xf1ff
	v_cndmask_b32_e64 v24, 0, 1, s1
	v_fma_f16 v9, v55, v26, -v9
	v_lshrrev_b32_e32 v23, 16, v23
	s_or_b32 vcc_lo, s0, vcc_lo
	v_cvt_f64_f32_e32 v[21:22], v21
	s_wait_alu 0xfffe
	v_add_co_ci_u32_e32 v7, vcc_lo, 0, v7, vcc_lo
	v_cmp_ne_u32_e32 vcc_lo, 0, v13
	v_and_or_b32 v24, 0xffe, v28, v24
	v_sub_nc_u32_e32 v28, 0x3f1, v29
	v_cvt_f32_f16_e32 v9, v9
	s_wait_alu 0xfffd
	v_cndmask_b32_e64 v13, 0, 1, vcc_lo
	v_cmp_gt_i32_e32 vcc_lo, 31, v11
	v_or_b32_e32 v30, 0x1000, v24
	v_med3_i32 v28, v28, 0, 13
	s_delay_alu instid0(VALU_DEP_4)
	v_lshl_or_b32 v13, v13, 9, 0x7c00
	s_wait_alu 0xfffd
	v_cndmask_b32_e32 v7, 0x7c00, v7, vcc_lo
	v_cmp_eq_u32_e32 vcc_lo, 0x40f, v25
	v_lshrrev_b32_e32 v25, v28, v30
	v_bfe_u32 v26, v18, 20, 11
	s_wait_alu 0xfffd
	v_cndmask_b32_e32 v19, v27, v19, vcc_lo
	v_cmp_eq_u32_e32 vcc_lo, 0x40f, v11
	v_lshrrev_b32_e32 v11, 16, v14
	v_lshlrev_b32_e32 v3, v28, v25
	s_delay_alu instid0(VALU_DEP_4)
	v_and_or_b32 v27, 0x8000, v20, v19
	s_wait_alu 0xfffd
	v_cndmask_b32_e32 v7, v7, v13, vcc_lo
	v_lshrrev_b32_e32 v19, 8, v18
	v_cmp_ne_u32_e32 vcc_lo, v3, v30
	v_cvt_f64_f32_e32 v[13:14], v9
	s_delay_alu instid0(VALU_DEP_4)
	v_and_or_b32 v7, 0x8000, v11, v7
	v_and_or_b32 v11, 0x1ff, v18, v17
	s_wait_alu 0xfffd
	v_cndmask_b32_e64 v3, 0, 1, vcc_lo
	v_add_nc_u32_e32 v17, 0xfffffc10, v29
	v_lshrrev_b32_e32 v18, 16, v18
	v_cmp_ne_u32_e32 vcc_lo, 0, v11
	s_delay_alu instid0(VALU_DEP_4) | instskip(NEXT) | instid1(VALU_DEP_4)
	v_or_b32_e32 v3, v25, v3
	v_lshl_or_b32 v9, v17, 12, v24
	v_sub_nc_u32_e32 v25, 0x3f1, v26
	v_add_nc_u32_e32 v26, 0xfffffc10, v26
	s_wait_alu 0xfffd
	v_cndmask_b32_e64 v11, 0, 1, vcc_lo
	v_cmp_gt_i32_e32 vcc_lo, 1, v17
	v_med3_i32 v25, v25, 0, 13
	s_delay_alu instid0(VALU_DEP_3)
	v_and_or_b32 v11, 0xffe, v19, v11
	v_mul_f64_e32 v[19:20], s[2:3], v[21:22]
	s_wait_alu 0xfffd
	v_cndmask_b32_e32 v3, v9, v3, vcc_lo
	v_and_b32_e32 v21, 0xffff, v27
	v_add_co_u32 v15, vcc_lo, v15, s6
	v_or_b32_e32 v9, 0x1000, v11
	s_wait_alu 0xfffd
	v_add_co_ci_u32_e32 v16, vcc_lo, s7, v16, vcc_lo
	v_and_b32_e32 v27, 7, v3
	v_lshl_or_b32 v7, v7, 16, v21
	v_lshrrev_b32_e32 v28, v25, v9
	v_add_co_u32 v21, vcc_lo, v15, s6
	s_wait_alu 0xfffd
	v_add_co_ci_u32_e32 v22, vcc_lo, s7, v16, vcc_lo
	s_delay_alu instid0(VALU_DEP_3)
	v_lshlrev_b32_e32 v25, v25, v28
	v_cmp_lt_i32_e32 vcc_lo, 5, v27
	v_cmp_eq_u32_e64 s0, 3, v27
	v_lshrrev_b32_e32 v3, 2, v3
	v_lshrrev_b32_e32 v27, 16, v4
	v_cmp_ne_u32_e64 s1, v25, v9
	v_mul_f64_e32 v[13:14], s[2:3], v[13:14]
	s_or_b32 vcc_lo, s0, vcc_lo
	global_store_b32 v[15:16], v5, off
	global_store_b32 v[21:22], v7, off
	s_wait_alu 0xfffe
	v_add_co_ci_u32_e32 v3, vcc_lo, 0, v3, vcc_lo
	v_cndmask_b32_e64 v9, 0, 1, s1
	v_cmp_gt_i32_e32 vcc_lo, 31, v17
	v_mul_f16_e32 v25, v56, v27
	v_cmp_eq_u32_e64 s1, 0x40f, v17
	s_delay_alu instid0(VALU_DEP_4)
	v_or_b32_e32 v9, v28, v9
	v_lshl_or_b32 v28, v26, 12, v11
	s_wait_alu 0xfffd
	v_cndmask_b32_e32 v3, 0x7c00, v3, vcc_lo
	v_cmp_gt_i32_e32 vcc_lo, 1, v26
	v_fmac_f16_e32 v25, v51, v4
	v_mul_f16_e32 v4, v56, v4
	v_and_or_b32 v19, 0x1ff, v20, v19
	s_wait_alu 0xfffd
	v_cndmask_b32_e32 v9, v28, v9, vcc_lo
	v_cmp_ne_u32_e32 vcc_lo, 0, v24
	v_cvt_f32_f16_e32 v25, v25
	v_lshrrev_b32_e32 v30, 8, v20
	v_bfe_u32 v31, v20, 20, 11
	v_and_b32_e32 v29, 7, v9
	s_wait_alu 0xfffd
	v_cndmask_b32_e64 v28, 0, 1, vcc_lo
	v_cmp_ne_u32_e32 vcc_lo, 0, v19
	v_cvt_f64_f32_e32 v[24:25], v25
	v_lshrrev_b32_e32 v9, 2, v9
	v_cmp_eq_u32_e64 s0, 3, v29
	v_lshl_or_b32 v28, v28, 9, 0x7c00
	s_wait_alu 0xfffd
	v_cndmask_b32_e64 v19, 0, 1, vcc_lo
	v_cmp_lt_i32_e32 vcc_lo, 5, v29
	v_sub_nc_u32_e32 v29, 0x3f1, v31
	v_fma_f16 v4, v51, v27, -v4
	s_wait_alu 0xf1ff
	v_cndmask_b32_e64 v3, v3, v28, s1
	v_and_or_b32 v19, 0xffe, v30, v19
	s_or_b32 vcc_lo, s0, vcc_lo
	v_med3_i32 v28, v29, 0, 13
	s_wait_alu 0xfffe
	v_add_co_ci_u32_e32 v9, vcc_lo, 0, v9, vcc_lo
	v_or_b32_e32 v17, 0x1000, v19
	v_cmp_ne_u32_e32 vcc_lo, 0, v11
	v_and_or_b32 v30, 0x8000, v23, v3
	v_lshrrev_b32_e32 v27, 8, v14
	v_add_co_u32 v15, s1, v21, s6
	s_wait_alu 0xfffd
	v_cndmask_b32_e64 v11, 0, 1, vcc_lo
	v_lshrrev_b32_e32 v29, v28, v17
	v_cmp_gt_i32_e32 vcc_lo, 31, v26
	s_wait_alu 0xf1ff
	v_add_co_ci_u32_e64 v16, s1, s7, v22, s1
	v_lshl_or_b32 v11, v11, 9, 0x7c00
	v_lshlrev_b32_e32 v3, v28, v29
	s_wait_alu 0xfffd
	v_cndmask_b32_e32 v9, 0x7c00, v9, vcc_lo
	v_cmp_eq_u32_e32 vcc_lo, 0x40f, v26
	v_add_nc_u32_e32 v26, 0xfffffc10, v31
	s_wait_alu 0xfffd
	s_delay_alu instid0(VALU_DEP_3)
	v_cndmask_b32_e32 v9, v9, v11, vcc_lo
	v_and_or_b32 v11, 0x1ff, v14, v13
	v_cmp_ne_u32_e32 vcc_lo, v3, v17
	v_cvt_f32_f16_e32 v17, v4
	v_mul_f64_e32 v[3:4], s[2:3], v[24:25]
	v_lshl_or_b32 v25, v26, 12, v19
	s_wait_alu 0xfffd
	v_cndmask_b32_e64 v13, 0, 1, vcc_lo
	v_cmp_ne_u32_e32 vcc_lo, 0, v11
	v_cvt_f64_f32_e32 v[23:24], v17
	v_bfe_u32 v17, v14, 20, 11
	v_and_or_b32 v9, 0x8000, v18, v9
	v_or_b32_e32 v13, v29, v13
	s_wait_alu 0xfffd
	v_cndmask_b32_e64 v11, 0, 1, vcc_lo
	v_cmp_gt_i32_e32 vcc_lo, 1, v26
	s_delay_alu instid0(VALU_DEP_2) | instskip(SKIP_3) | instid1(VALU_DEP_3)
	v_and_or_b32 v11, 0xffe, v27, v11
	v_sub_nc_u32_e32 v27, 0x3f1, v17
	s_wait_alu 0xfffd
	v_cndmask_b32_e32 v13, v25, v13, vcc_lo
	v_or_b32_e32 v18, 0x1000, v11
	s_delay_alu instid0(VALU_DEP_3) | instskip(NEXT) | instid1(VALU_DEP_3)
	v_med3_i32 v25, v27, 0, 13
	v_and_b32_e32 v28, 7, v13
	v_and_b32_e32 v27, 0xffff, v30
	s_delay_alu instid0(VALU_DEP_3) | instskip(NEXT) | instid1(VALU_DEP_3)
	v_lshrrev_b32_e32 v5, v25, v18
	v_cmp_lt_i32_e32 vcc_lo, 5, v28
	v_cmp_eq_u32_e64 s0, 3, v28
	s_delay_alu instid0(VALU_DEP_4)
	v_lshl_or_b32 v7, v9, 16, v27
	v_lshrrev_b32_e32 v9, 2, v13
	v_lshlrev_b32_e32 v13, v25, v5
	v_add_nc_u32_e32 v25, 0xfffffc10, v17
	s_or_b32 vcc_lo, s0, vcc_lo
	global_store_b32 v[15:16], v7, off
	s_wait_alu 0xfffe
	v_add_co_ci_u32_e32 v9, vcc_lo, 0, v9, vcc_lo
	v_cmp_ne_u32_e32 vcc_lo, v13, v18
	v_and_or_b32 v3, 0x1ff, v4, v3
	v_lshrrev_b32_e32 v21, 8, v4
	s_wait_alu 0xfffd
	v_cndmask_b32_e64 v13, 0, 1, vcc_lo
	v_cmp_gt_i32_e32 vcc_lo, 31, v26
	v_mul_f64_e32 v[17:18], s[2:3], v[23:24]
	v_bfe_u32 v23, v4, 20, 11
	s_delay_alu instid0(VALU_DEP_4)
	v_or_b32_e32 v5, v5, v13
	s_wait_alu 0xfffd
	v_cndmask_b32_e32 v7, 0x7c00, v9, vcc_lo
	v_cmp_ne_u32_e32 vcc_lo, 0, v19
	v_lshl_or_b32 v9, v25, 12, v11
	v_lshrrev_b32_e32 v19, 16, v12
	s_wait_alu 0xfffd
	v_cndmask_b32_e64 v13, 0, 1, vcc_lo
	v_cmp_gt_i32_e32 vcc_lo, 1, v25
	s_delay_alu instid0(VALU_DEP_2) | instskip(SKIP_4) | instid1(VALU_DEP_3)
	v_lshl_or_b32 v13, v13, 9, 0x7c00
	s_wait_alu 0xfffd
	v_cndmask_b32_e32 v5, v9, v5, vcc_lo
	v_cmp_ne_u32_e32 vcc_lo, 0, v3
	v_mul_f16_e32 v9, v54, v19
	v_and_b32_e32 v22, 7, v5
	s_wait_alu 0xfffd
	v_cndmask_b32_e64 v3, 0, 1, vcc_lo
	s_delay_alu instid0(VALU_DEP_3)
	v_fmac_f16_e32 v9, v49, v12
	v_cmp_eq_u32_e32 vcc_lo, 0x40f, v26
	v_lshrrev_b32_e32 v5, 2, v5
	v_cmp_eq_u32_e64 s0, 3, v22
	v_and_or_b32 v3, 0xffe, v21, v3
	v_sub_nc_u32_e32 v21, 0x3f1, v23
	s_wait_alu 0xfffd
	v_cndmask_b32_e32 v7, v7, v13, vcc_lo
	v_cvt_f32_f16_e32 v9, v9
	v_cmp_lt_i32_e32 vcc_lo, 5, v22
	v_or_b32_e32 v13, 0x1000, v3
	v_med3_i32 v24, v21, 0, 13
	v_mul_f16_e32 v12, v54, v12
	v_cvt_f64_f32_e32 v[21:22], v9
	v_lshrrev_b32_e32 v9, 16, v20
	s_or_b32 vcc_lo, s0, vcc_lo
	v_lshrrev_b32_e32 v20, v24, v13
	s_wait_alu 0xfffe
	v_add_co_ci_u32_e32 v5, vcc_lo, 0, v5, vcc_lo
	v_cmp_gt_i32_e32 vcc_lo, 31, v25
	v_and_or_b32 v7, 0x8000, v9, v7
	v_lshlrev_b32_e32 v24, v24, v20
	v_fma_f16 v9, v49, v19, -v12
	v_add_nc_u32_e32 v23, 0xfffffc10, v23
	s_wait_alu 0xfffd
	v_cndmask_b32_e32 v5, 0x7c00, v5, vcc_lo
	v_and_b32_e32 v7, 0xffff, v7
	v_cmp_ne_u32_e32 vcc_lo, v24, v13
	v_and_or_b32 v13, 0x1ff, v18, v17
	v_cvt_f32_f16_e32 v9, v9
	v_bfe_u32 v24, v18, 20, 11
	s_wait_alu 0xfffd
	v_cndmask_b32_e64 v12, 0, 1, vcc_lo
	v_cmp_ne_u32_e32 vcc_lo, 0, v11
	s_delay_alu instid0(VALU_DEP_2)
	v_or_b32_e32 v19, v20, v12
	s_wait_alu 0xfffd
	v_cndmask_b32_e64 v17, 0, 1, vcc_lo
	v_cmp_ne_u32_e32 vcc_lo, 0, v13
	v_lshl_or_b32 v20, v23, 12, v3
	v_cvt_f64_f32_e32 v[11:12], v9
	v_lshrrev_b32_e32 v13, 8, v18
	v_lshl_or_b32 v17, v17, 9, 0x7c00
	s_wait_alu 0xfffd
	v_cndmask_b32_e64 v9, 0, 1, vcc_lo
	v_cmp_gt_i32_e32 vcc_lo, 1, v23
	s_delay_alu instid0(VALU_DEP_2)
	v_and_or_b32 v9, 0xffe, v13, v9
	s_wait_alu 0xfffd
	v_cndmask_b32_e32 v19, v20, v19, vcc_lo
	v_cmp_eq_u32_e32 vcc_lo, 0x40f, v25
	v_sub_nc_u32_e32 v13, 0x3f1, v24
	v_or_b32_e32 v25, 0x1000, v9
	s_wait_alu 0xfffd
	v_dual_cndmask_b32 v5, v5, v17 :: v_dual_and_b32 v20, 7, v19
	v_lshrrev_b32_e32 v17, 16, v14
	v_med3_i32 v26, v13, 0, 13
	v_mul_f64_e32 v[13:14], s[2:3], v[21:22]
	s_delay_alu instid0(VALU_DEP_4)
	v_cmp_lt_i32_e32 vcc_lo, 5, v20
	v_cmp_eq_u32_e64 s0, 3, v20
	v_and_or_b32 v5, 0x8000, v17, v5
	v_lshrrev_b32_e32 v17, v26, v25
	v_lshrrev_b32_e32 v21, 16, v0
	v_add_nc_u32_e32 v22, 0xfffffc10, v24
	s_or_b32 vcc_lo, s0, vcc_lo
	v_lshl_or_b32 v5, v5, 16, v7
	v_lshrrev_b32_e32 v7, 2, v19
	v_lshlrev_b32_e32 v19, v26, v17
	v_mul_f16_e32 v20, v52, v21
	s_wait_alu 0xfffe
	s_delay_alu instid0(VALU_DEP_3) | instskip(NEXT) | instid1(VALU_DEP_3)
	v_add_co_ci_u32_e32 v7, vcc_lo, 0, v7, vcc_lo
	v_cmp_ne_u32_e32 vcc_lo, v19, v25
	s_delay_alu instid0(VALU_DEP_3)
	v_fmac_f16_e32 v20, v47, v0
	v_mul_f16_e32 v0, v52, v0
	v_mul_f64_e32 v[11:12], s[2:3], v[11:12]
	s_wait_alu 0xfffd
	v_cndmask_b32_e64 v19, 0, 1, vcc_lo
	v_cmp_ne_u32_e32 vcc_lo, 0, v3
	v_cvt_f32_f16_e32 v20, v20
	v_fma_f16 v0, v47, v21, -v0
	s_delay_alu instid0(VALU_DEP_4)
	v_or_b32_e32 v17, v17, v19
	s_wait_alu 0xfffd
	v_cndmask_b32_e64 v3, 0, 1, vcc_lo
	v_cmp_gt_i32_e32 vcc_lo, 31, v23
	v_lshl_or_b32 v19, v22, 12, v9
	v_cvt_f32_f16_e32 v0, v0
	s_delay_alu instid0(VALU_DEP_4)
	v_lshl_or_b32 v3, v3, 9, 0x7c00
	s_wait_alu 0xfffd
	v_cndmask_b32_e32 v7, 0x7c00, v7, vcc_lo
	v_cmp_gt_i32_e32 vcc_lo, 1, v22
	v_and_or_b32 v13, 0x1ff, v14, v13
	s_wait_alu 0xfffd
	v_cndmask_b32_e32 v17, v19, v17, vcc_lo
	v_cvt_f64_f32_e32 v[19:20], v20
	v_cmp_eq_u32_e32 vcc_lo, 0x40f, v23
	v_lshrrev_b32_e32 v23, 16, v4
	v_cmp_ne_u32_e64 s1, 0, v13
	s_wait_alu 0xfffd
	v_dual_cndmask_b32 v7, v7, v3 :: v_dual_and_b32 v24, 7, v17
	v_add_co_u32 v3, vcc_lo, v15, s6
	s_wait_alu 0xfffd
	v_add_co_ci_u32_e32 v4, vcc_lo, s7, v16, vcc_lo
	s_delay_alu instid0(VALU_DEP_3)
	v_cmp_lt_i32_e32 vcc_lo, 5, v24
	v_cmp_eq_u32_e64 s0, 3, v24
	v_lshrrev_b32_e32 v15, 2, v17
	s_wait_alu 0xf1ff
	v_cndmask_b32_e64 v13, 0, 1, s1
	v_lshrrev_b32_e32 v16, 8, v14
	v_bfe_u32 v17, v14, 20, 11
	s_or_b32 vcc_lo, s0, vcc_lo
	v_and_or_b32 v7, 0x8000, v23, v7
	s_wait_alu 0xfffe
	v_add_co_ci_u32_e32 v15, vcc_lo, 0, v15, vcc_lo
	v_and_or_b32 v13, 0xffe, v16, v13
	v_sub_nc_u32_e32 v16, 0x3f1, v17
	v_cmp_ne_u32_e32 vcc_lo, 0, v9
	v_and_or_b32 v11, 0x1ff, v12, v11
	v_bfe_u32 v24, v12, 20, 11
	v_or_b32_e32 v23, 0x1000, v13
	v_med3_i32 v16, v16, 0, 13
	s_wait_alu 0xfffd
	v_cndmask_b32_e64 v9, 0, 1, vcc_lo
	v_cmp_gt_i32_e32 vcc_lo, 31, v22
	global_store_b32 v[3:4], v5, off
	v_and_b32_e32 v7, 0xffff, v7
	v_lshrrev_b32_e32 v21, v16, v23
	v_lshl_or_b32 v9, v9, 9, 0x7c00
	s_wait_alu 0xfffd
	v_cndmask_b32_e32 v15, 0x7c00, v15, vcc_lo
	v_cmp_eq_u32_e32 vcc_lo, 0x40f, v22
	v_lshrrev_b32_e32 v5, 16, v6
	v_lshlrev_b32_e32 v22, v16, v21
	s_wait_alu 0xfffd
	v_cndmask_b32_e32 v9, v15, v9, vcc_lo
	v_cmp_ne_u32_e32 vcc_lo, 0, v11
	v_mul_f64_e32 v[15:16], s[2:3], v[19:20]
	v_cvt_f64_f32_e32 v[19:20], v0
	v_lshrrev_b32_e32 v11, 8, v12
	s_wait_alu 0xfffd
	v_cndmask_b32_e64 v0, 0, 1, vcc_lo
	v_cmp_ne_u32_e32 vcc_lo, v22, v23
	v_add_nc_u32_e32 v23, 0xfffffc10, v17
	v_lshrrev_b32_e32 v17, 16, v18
	s_delay_alu instid0(VALU_DEP_4)
	v_and_or_b32 v0, 0xffe, v11, v0
	s_wait_alu 0xfffd
	v_cndmask_b32_e64 v22, 0, 1, vcc_lo
	v_sub_nc_u32_e32 v11, 0x3f1, v24
	v_cmp_gt_i32_e32 vcc_lo, 1, v23
	v_and_or_b32 v9, 0x8000, v17, v9
	v_cmp_eq_u32_e64 s1, 0x40f, v23
	v_or_b32_e32 v18, v21, v22
	v_or_b32_e32 v22, 0x1000, v0
	v_med3_i32 v11, v11, 0, 13
	v_lshl_or_b32 v21, v23, 12, v13
	v_lshl_or_b32 v7, v9, 16, v7
	v_mul_f16_e32 v9, v50, v5
	s_delay_alu instid0(VALU_DEP_4)
	v_lshrrev_b32_e32 v25, v11, v22
	s_wait_alu 0xfffd
	v_cndmask_b32_e32 v21, v21, v18, vcc_lo
	v_mad_co_u64_u32 v[17:18], null, 0xffff6000, s4, v[3:4]
	v_fmac_f16_e32 v9, v45, v6
	v_lshlrev_b32_e32 v4, v11, v25
	s_delay_alu instid0(VALU_DEP_4)
	v_and_b32_e32 v3, 7, v21
	v_lshrrev_b32_e32 v21, 2, v21
	v_add_nc_u32_e32 v11, 0xfffffc10, v24
	v_cvt_f32_f16_e32 v9, v9
	v_cmp_ne_u32_e64 s0, v4, v22
	v_cmp_lt_i32_e32 vcc_lo, 5, v3
	v_mul_f16_e32 v6, v50, v6
	v_lshl_or_b32 v24, v11, 12, v0
	v_add_nc_u32_e32 v18, s5, v18
	s_wait_alu 0xf1ff
	v_cndmask_b32_e64 v4, 0, 1, s0
	v_cmp_eq_u32_e64 s0, 3, v3
	v_and_or_b32 v15, 0x1ff, v16, v15
	v_fma_f16 v5, v45, v5, -v6
	global_store_b32 v[17:18], v7, off
	v_or_b32_e32 v22, v25, v4
	v_mul_f64_e32 v[3:4], s[2:3], v[19:20]
	s_or_b32 vcc_lo, s0, vcc_lo
	v_cvt_f64_f32_e32 v[19:20], v9
	s_wait_alu 0xfffe
	v_add_co_ci_u32_e32 v21, vcc_lo, 0, v21, vcc_lo
	v_cmp_gt_i32_e32 vcc_lo, 1, v11
	s_wait_alu 0xfffd
	v_cndmask_b32_e32 v22, v24, v22, vcc_lo
	v_cmp_ne_u32_e32 vcc_lo, 0, v15
	v_lshrrev_b32_e32 v15, 8, v16
	v_bfe_u32 v24, v16, 20, 11
	v_lshrrev_b32_e32 v16, 16, v16
	v_and_b32_e32 v25, 7, v22
	s_wait_alu 0xfffd
	v_cndmask_b32_e64 v9, 0, 1, vcc_lo
	v_cmp_ne_u32_e32 vcc_lo, 0, v13
	v_lshrrev_b32_e32 v22, 2, v22
	v_cmp_eq_u32_e64 s0, 3, v25
	s_delay_alu instid0(VALU_DEP_4)
	v_and_or_b32 v9, 0xffe, v15, v9
	v_sub_nc_u32_e32 v15, 0x3f1, v24
	s_wait_alu 0xfffd
	v_cndmask_b32_e64 v13, 0, 1, vcc_lo
	v_cmp_gt_i32_e32 vcc_lo, 31, v23
	v_add_nc_u32_e32 v24, 0xfffffc10, v24
	v_or_b32_e32 v26, 0x1000, v9
	v_med3_i32 v15, v15, 0, 13
	v_lshl_or_b32 v13, v13, 9, 0x7c00
	s_wait_alu 0xfffd
	v_cndmask_b32_e32 v21, 0x7c00, v21, vcc_lo
	v_cmp_lt_i32_e32 vcc_lo, 5, v25
	v_lshrrev_b32_e32 v23, v15, v26
	s_delay_alu instid0(VALU_DEP_3)
	v_cndmask_b32_e64 v21, v21, v13, s1
	s_or_b32 vcc_lo, s0, vcc_lo
	s_wait_alu 0xfffe
	v_add_co_ci_u32_e32 v13, vcc_lo, 0, v22, vcc_lo
	v_lshrrev_b32_e32 v22, 16, v14
	v_lshlrev_b32_e32 v14, v15, v23
	v_cmp_gt_i32_e32 vcc_lo, 31, v11
	v_and_or_b32 v3, 0x1ff, v4, v3
	v_bfe_u32 v27, v4, 20, 11
	s_wait_alu 0xfffd
	v_cndmask_b32_e32 v15, 0x7c00, v13, vcc_lo
	v_cmp_ne_u32_e32 vcc_lo, v14, v26
	v_cvt_f32_f16_e32 v13, v5
	v_lshrrev_b32_e32 v26, 8, v4
	v_mul_f64_e32 v[5:6], s[2:3], v[19:20]
	v_sub_nc_u32_e32 v19, 0x3f1, v27
	s_wait_alu 0xfffd
	v_cndmask_b32_e64 v25, 0, 1, vcc_lo
	v_cmp_ne_u32_e32 vcc_lo, 0, v3
	v_cvt_f64_f32_e32 v[13:14], v13
	v_med3_i32 v19, v19, 0, 13
	s_delay_alu instid0(VALU_DEP_4) | instskip(SKIP_4) | instid1(VALU_DEP_3)
	v_or_b32_e32 v20, v23, v25
	s_wait_alu 0xfffd
	v_cndmask_b32_e64 v3, 0, 1, vcc_lo
	v_cmp_ne_u32_e32 vcc_lo, 0, v0
	v_lshl_or_b32 v23, v24, 12, v9
	v_and_or_b32 v3, 0xffe, v26, v3
	s_wait_alu 0xfffd
	v_cndmask_b32_e64 v0, 0, 1, vcc_lo
	v_cmp_gt_i32_e32 vcc_lo, 1, v24
	s_delay_alu instid0(VALU_DEP_3) | instskip(NEXT) | instid1(VALU_DEP_3)
	v_or_b32_e32 v25, 0x1000, v3
	v_lshl_or_b32 v0, v0, 9, 0x7c00
	s_wait_alu 0xfffd
	v_cndmask_b32_e32 v20, v23, v20, vcc_lo
	v_cmp_eq_u32_e32 vcc_lo, 0x40f, v11
	v_lshrrev_b32_e32 v11, 16, v12
	v_lshrrev_b32_e32 v12, v19, v25
	s_wait_alu 0xfffd
	v_cndmask_b32_e32 v0, v15, v0, vcc_lo
	v_and_or_b32 v15, 0x8000, v22, v21
	v_and_b32_e32 v21, 7, v20
	s_delay_alu instid0(VALU_DEP_3) | instskip(SKIP_1) | instid1(VALU_DEP_3)
	v_and_or_b32 v7, 0x8000, v11, v0
	v_lshlrev_b32_e32 v0, v19, v12
	v_cmp_lt_i32_e32 vcc_lo, 5, v21
	v_cmp_eq_u32_e64 s0, 3, v21
	v_lshrrev_b32_e32 v11, 2, v20
	v_add_nc_u32_e32 v19, 0xfffffc10, v27
	v_cmp_ne_u32_e64 s1, v0, v25
	v_lshrrev_b32_e32 v21, 16, v1
	s_or_b32 vcc_lo, s0, vcc_lo
	v_and_or_b32 v5, 0x1ff, v6, v5
	s_wait_alu 0xfffe
	v_add_co_ci_u32_e32 v20, vcc_lo, 0, v11, vcc_lo
	v_cndmask_b32_e64 v0, 0, 1, s1
	v_cmp_ne_u32_e32 vcc_lo, 0, v9
	v_lshl_or_b32 v11, v19, 12, v3
	v_lshrrev_b32_e32 v22, 8, v6
	v_bfe_u32 v23, v6, 20, 11
	v_or_b32_e32 v0, v12, v0
	s_wait_alu 0xfffd
	v_cndmask_b32_e64 v9, 0, 1, vcc_lo
	v_cmp_gt_i32_e32 vcc_lo, 1, v19
	v_cmp_eq_u32_e64 s1, 0x40f, v24
	v_and_b32_e32 v15, 0xffff, v15
	v_lshrrev_b32_e32 v6, 16, v6
	v_lshl_or_b32 v9, v9, 9, 0x7c00
	s_wait_alu 0xfffd
	v_cndmask_b32_e32 v0, v11, v0, vcc_lo
	v_mul_f64_e32 v[11:12], s[2:3], v[13:14]
	v_mul_f16_e32 v13, v48, v21
	v_cmp_gt_i32_e32 vcc_lo, 31, v24
	v_lshl_or_b32 v25, v7, 16, v15
	v_and_b32_e32 v14, 7, v0
	v_lshrrev_b32_e32 v0, 2, v0
	v_fmac_f16_e32 v13, v43, v1
	s_wait_alu 0xfffd
	v_cndmask_b32_e32 v20, 0x7c00, v20, vcc_lo
	v_cmp_ne_u32_e32 vcc_lo, 0, v5
	v_cmp_eq_u32_e64 s0, 3, v14
	v_mul_f16_e32 v1, v48, v1
	v_cvt_f32_f16_e32 v13, v13
	s_wait_alu 0xf1ff
	v_cndmask_b32_e64 v9, v20, v9, s1
	s_wait_alu 0xfffd
	v_cndmask_b32_e64 v5, 0, 1, vcc_lo
	v_cmp_lt_i32_e32 vcc_lo, 5, v14
	v_cvt_f64_f32_e32 v[13:14], v13
	v_and_or_b32 v9, 0x8000, v16, v9
	s_delay_alu instid0(VALU_DEP_4)
	v_and_or_b32 v5, 0xffe, v22, v5
	s_or_b32 vcc_lo, s0, vcc_lo
	v_sub_nc_u32_e32 v22, 0x3f1, v23
	s_wait_alu 0xfffe
	v_add_co_ci_u32_e32 v0, vcc_lo, 0, v0, vcc_lo
	v_cmp_ne_u32_e32 vcc_lo, 0, v3
	v_or_b32_e32 v20, 0x1000, v5
	v_med3_i32 v22, v22, 0, 13
	v_and_b32_e32 v9, 0xffff, v9
	s_wait_alu 0xfffd
	v_cndmask_b32_e64 v3, 0, 1, vcc_lo
	v_cmp_gt_i32_e32 vcc_lo, 31, v19
	v_lshrrev_b32_e32 v24, v22, v20
	s_delay_alu instid0(VALU_DEP_3) | instskip(SKIP_4) | instid1(VALU_DEP_2)
	v_lshl_or_b32 v3, v3, 9, 0x7c00
	s_wait_alu 0xfffd
	v_cndmask_b32_e32 v0, 0x7c00, v0, vcc_lo
	v_cmp_eq_u32_e32 vcc_lo, 0x40f, v19
	s_wait_alu 0xfffd
	v_dual_cndmask_b32 v19, v0, v3 :: v_dual_lshlrev_b32 v16, v22, v24
	v_fma_f16 v0, v43, v21, -v1
	v_and_or_b32 v1, 0x1ff, v12, v11
	s_delay_alu instid0(VALU_DEP_3)
	v_cmp_ne_u32_e32 vcc_lo, v16, v20
	v_add_nc_u32_e32 v11, 0xfffffc10, v23
	v_lshrrev_b32_e32 v20, 8, v12
	v_cvt_f32_f16_e32 v0, v0
	v_bfe_u32 v21, v12, 20, 11
	s_wait_alu 0xfffd
	v_cndmask_b32_e64 v3, 0, 1, vcc_lo
	v_cmp_ne_u32_e32 vcc_lo, 0, v1
	v_lshl_or_b32 v22, v11, 12, v5
	v_cvt_f64_f32_e32 v[0:1], v0
	v_lshrrev_b32_e32 v23, 16, v4
	v_or_b32_e32 v3, v24, v3
	s_wait_alu 0xfffd
	v_cndmask_b32_e64 v16, 0, 1, vcc_lo
	v_cmp_gt_i32_e32 vcc_lo, 1, v11
	v_lshrrev_b32_e32 v12, 16, v12
	v_and_or_b32 v7, 0x8000, v23, v19
	v_lshrrev_b32_e32 v23, 16, v8
	v_and_or_b32 v20, 0xffe, v20, v16
	v_sub_nc_u32_e32 v16, 0x3f1, v21
	s_wait_alu 0xfffd
	v_cndmask_b32_e32 v22, v22, v3, vcc_lo
	v_mul_f64_e32 v[3:4], s[2:3], v[13:14]
	v_add_co_u32 v13, vcc_lo, v17, s6
	v_or_b32_e32 v24, 0x1000, v20
	v_med3_i32 v16, v16, 0, 13
	v_and_b32_e32 v15, 7, v22
	v_lshl_or_b32 v9, v7, 16, v9
	s_wait_alu 0xfffd
	v_add_co_ci_u32_e32 v14, vcc_lo, s7, v18, vcc_lo
	v_lshrrev_b32_e32 v19, v16, v24
	v_cmp_lt_i32_e32 vcc_lo, 5, v15
	v_cmp_eq_u32_e64 s0, 3, v15
	v_lshrrev_b32_e32 v15, 2, v22
	v_mul_f16_e32 v17, v46, v23
	v_lshlrev_b32_e32 v7, v16, v19
	v_add_nc_u32_e32 v21, 0xfffffc10, v21
	s_or_b32 vcc_lo, s0, vcc_lo
	s_wait_alu 0xfffe
	v_add_co_ci_u32_e32 v18, vcc_lo, 0, v15, vcc_lo
	v_cmp_ne_u32_e64 s1, v7, v24
	v_cmp_ne_u32_e32 vcc_lo, 0, v5
	v_fmac_f16_e32 v17, v41, v8
	s_wait_alu 0xf1ff
	s_delay_alu instid0(VALU_DEP_3)
	v_cndmask_b32_e64 v7, 0, 1, s1
	s_wait_alu 0xfffd
	v_cndmask_b32_e64 v5, 0, 1, vcc_lo
	v_mul_f64_e32 v[15:16], s[2:3], v[0:1]
	v_cmp_gt_i32_e32 vcc_lo, 1, v21
	v_cvt_f32_f16_e32 v0, v17
	v_or_b32_e32 v7, v19, v7
	v_lshl_or_b32 v19, v21, 12, v20
	v_lshl_or_b32 v5, v5, 9, 0x7c00
	s_delay_alu instid0(VALU_DEP_4) | instskip(SKIP_1) | instid1(VALU_DEP_3)
	v_cvt_f64_f32_e32 v[0:1], v0
	s_wait_alu 0xfffd
	v_cndmask_b32_e32 v7, v19, v7, vcc_lo
	v_cmp_gt_i32_e32 vcc_lo, 31, v11
	v_and_or_b32 v3, 0x1ff, v4, v3
	s_wait_alu 0xfffd
	s_delay_alu instid0(VALU_DEP_3)
	v_dual_cndmask_b32 v19, 0x7c00, v18 :: v_dual_and_b32 v22, 7, v7
	v_add_co_u32 v17, vcc_lo, v13, s6
	s_wait_alu 0xfffd
	v_add_co_ci_u32_e32 v18, vcc_lo, s7, v14, vcc_lo
	v_cmp_eq_u32_e32 vcc_lo, 0x40f, v11
	v_cmp_ne_u32_e64 s0, 0, v3
	v_lshrrev_b32_e32 v7, 2, v7
	v_lshrrev_b32_e32 v11, 8, v4
	global_store_b32 v[13:14], v25, off
	global_store_b32 v[17:18], v9, off
	s_wait_alu 0xfffd
	v_cndmask_b32_e32 v5, v19, v5, vcc_lo
	v_cmp_lt_i32_e32 vcc_lo, 5, v22
	s_wait_alu 0xf1ff
	v_cndmask_b32_e64 v3, 0, 1, s0
	v_cmp_eq_u32_e64 s0, 3, v22
	v_bfe_u32 v19, v4, 20, 11
	v_and_or_b32 v24, 0x8000, v6, v5
	v_lshrrev_b32_e32 v13, 16, v2
	v_and_or_b32 v22, 0xffe, v11, v3
	s_or_b32 vcc_lo, s0, vcc_lo
	v_sub_nc_u32_e32 v3, 0x3f1, v19
	s_wait_alu 0xfffe
	v_add_co_ci_u32_e32 v7, vcc_lo, 0, v7, vcc_lo
	v_cmp_ne_u32_e32 vcc_lo, 0, v20
	v_or_b32_e32 v20, 0x1000, v22
	v_med3_i32 v3, v3, 0, 13
	v_and_or_b32 v5, 0x1ff, v16, v15
	v_lshrrev_b32_e32 v15, 8, v16
	s_wait_alu 0xfffd
	v_cndmask_b32_e64 v11, 0, 1, vcc_lo
	v_cmp_gt_i32_e32 vcc_lo, 31, v21
	v_lshrrev_b32_e32 v26, v3, v20
	v_add_nc_u32_e32 v19, 0xfffffc10, v19
	v_lshrrev_b32_e32 v4, 16, v4
	v_lshl_or_b32 v11, v11, 9, 0x7c00
	s_wait_alu 0xfffd
	v_cndmask_b32_e32 v7, 0x7c00, v7, vcc_lo
	v_cmp_eq_u32_e32 vcc_lo, 0x40f, v21
	v_lshlrev_b32_e32 v3, v3, v26
	v_bfe_u32 v21, v16, 20, 11
	v_cmp_eq_u32_e64 s1, 0x40f, v19
	s_wait_alu 0xfffd
	v_cndmask_b32_e32 v11, v7, v11, vcc_lo
	v_mul_f16_e32 v7, v46, v8
	v_cmp_ne_u32_e32 vcc_lo, 0, v5
	v_mul_f64_e32 v[5:6], s[2:3], v[0:1]
	v_add_nc_u32_e32 v14, 0xfffffc10, v21
	s_delay_alu instid0(VALU_DEP_4)
	v_fma_f16 v0, v41, v23, -v7
	s_wait_alu 0xfffd
	v_cndmask_b32_e64 v8, 0, 1, vcc_lo
	v_cmp_ne_u32_e32 vcc_lo, v3, v20
	v_sub_nc_u32_e32 v3, 0x3f1, v21
	v_lshl_or_b32 v20, v19, 12, v22
	v_cvt_f32_f16_e32 v0, v0
	v_and_or_b32 v15, 0xffe, v15, v8
	s_wait_alu 0xfffd
	v_cndmask_b32_e64 v1, 0, 1, vcc_lo
	v_cmp_gt_i32_e32 vcc_lo, 1, v19
	v_cvt_f64_f32_e32 v[7:8], v0
	v_or_b32_e32 v23, 0x1000, v15
	s_delay_alu instid0(VALU_DEP_4) | instskip(SKIP_3) | instid1(VALU_DEP_3)
	v_or_b32_e32 v1, v26, v1
	v_med3_i32 v0, v3, 0, 13
	v_and_or_b32 v3, 0x8000, v12, v11
	s_wait_alu 0xfffd
	v_dual_cndmask_b32 v12, v20, v1 :: v_dual_and_b32 v11, 0xffff, v24
	s_delay_alu instid0(VALU_DEP_3) | instskip(NEXT) | instid1(VALU_DEP_2)
	v_lshrrev_b32_e32 v20, v0, v23
	v_lshl_or_b32 v3, v3, 16, v11
	s_delay_alu instid0(VALU_DEP_3) | instskip(NEXT) | instid1(VALU_DEP_3)
	v_and_b32_e32 v9, 7, v12
	v_lshlrev_b32_e32 v11, v0, v20
	v_add_co_u32 v0, vcc_lo, v17, s6
	s_wait_alu 0xfffd
	v_add_co_ci_u32_e32 v1, vcc_lo, s7, v18, vcc_lo
	s_delay_alu instid0(VALU_DEP_3) | instskip(SKIP_3) | instid1(VALU_DEP_3)
	v_cmp_ne_u32_e64 s0, v11, v23
	v_cmp_lt_i32_e32 vcc_lo, 5, v9
	v_mul_f16_e32 v17, v44, v13
	s_wait_alu 0xf1ff
	v_cndmask_b32_e64 v11, 0, 1, s0
	v_cmp_eq_u32_e64 s0, 3, v9
	v_lshrrev_b32_e32 v9, 2, v12
	v_lshl_or_b32 v12, v14, 12, v15
	v_fmac_f16_e32 v17, v40, v2
	v_or_b32_e32 v11, v20, v11
	s_or_b32 vcc_lo, s0, vcc_lo
	v_and_or_b32 v5, 0x1ff, v6, v5
	s_wait_alu 0xfffe
	v_add_co_ci_u32_e32 v9, vcc_lo, 0, v9, vcc_lo
	v_cmp_gt_i32_e32 vcc_lo, 1, v14
	v_cvt_f32_f16_e32 v17, v17
	v_bfe_u32 v20, v6, 20, 11
	v_mul_f16_e32 v2, v44, v2
	s_wait_alu 0xfffd
	v_cndmask_b32_e32 v18, v12, v11, vcc_lo
	v_cmp_ne_u32_e32 vcc_lo, 0, v5
	v_cvt_f64_f32_e32 v[11:12], v17
	v_lshrrev_b32_e32 v17, 8, v6
	v_mul_f64_e32 v[7:8], s[2:3], v[7:8]
	v_fma_f16 v2, v40, v13, -v2
	s_wait_alu 0xfffd
	v_cndmask_b32_e64 v5, 0, 1, vcc_lo
	v_cmp_ne_u32_e32 vcc_lo, 0, v22
	v_and_b32_e32 v22, 7, v18
	v_lshrrev_b32_e32 v18, 2, v18
	v_cvt_f32_f16_e32 v2, v2
	v_and_or_b32 v17, 0xffe, v17, v5
	s_wait_alu 0xfffd
	v_cndmask_b32_e64 v21, 0, 1, vcc_lo
	v_cmp_gt_i32_e32 vcc_lo, 31, v19
	v_sub_nc_u32_e32 v5, 0x3f1, v20
	v_cmp_eq_u32_e64 s0, 3, v22
	v_or_b32_e32 v23, 0x1000, v17
	v_lshl_or_b32 v21, v21, 9, 0x7c00
	s_wait_alu 0xfffd
	v_cndmask_b32_e32 v9, 0x7c00, v9, vcc_lo
	v_cmp_lt_i32_e32 vcc_lo, 5, v22
	v_med3_i32 v5, v5, 0, 13
	v_add_nc_u32_e32 v20, 0xfffffc10, v20
	s_delay_alu instid0(VALU_DEP_4) | instskip(SKIP_1) | instid1(VALU_DEP_3)
	v_cndmask_b32_e64 v9, v9, v21, s1
	s_or_b32 vcc_lo, s0, vcc_lo
	v_lshrrev_b32_e32 v19, v5, v23
	s_wait_alu 0xfffe
	v_add_co_ci_u32_e32 v18, vcc_lo, 0, v18, vcc_lo
	v_cmp_ne_u32_e32 vcc_lo, 0, v15
	v_and_or_b32 v9, 0x8000, v4, v9
	v_lshlrev_b32_e32 v5, v5, v19
	s_wait_alu 0xfffd
	v_cndmask_b32_e64 v15, 0, 1, vcc_lo
	v_cmp_gt_i32_e32 vcc_lo, 31, v14
	v_and_b32_e32 v9, 0xffff, v9
	s_delay_alu instid0(VALU_DEP_3)
	v_lshl_or_b32 v15, v15, 9, 0x7c00
	s_wait_alu 0xfffd
	v_cndmask_b32_e32 v18, 0x7c00, v18, vcc_lo
	v_cmp_ne_u32_e32 vcc_lo, v5, v23
	v_and_or_b32 v7, 0x1ff, v8, v7
	s_wait_alu 0xfffd
	v_cndmask_b32_e64 v5, 0, 1, vcc_lo
	v_cmp_eq_u32_e32 vcc_lo, 0x40f, v14
	s_wait_alu 0xfffd
	v_cndmask_b32_e32 v14, v18, v15, vcc_lo
	s_delay_alu instid0(VALU_DEP_3)
	v_or_b32_e32 v15, v19, v5
	v_mul_f64_e32 v[4:5], s[2:3], v[11:12]
	v_lshl_or_b32 v11, v20, 12, v17
	v_cmp_gt_i32_e32 vcc_lo, 1, v20
	v_lshrrev_b32_e32 v12, 16, v16
	v_bfe_u32 v16, v8, 20, 11
	s_wait_alu 0xfffd
	v_cndmask_b32_e32 v13, v11, v15, vcc_lo
	v_cmp_ne_u32_e32 vcc_lo, 0, v7
	v_lshrrev_b32_e32 v15, 8, v8
	v_and_or_b32 v14, 0x8000, v12, v14
	v_cvt_f64_f32_e32 v[11:12], v2
	v_and_b32_e32 v18, 7, v13
	s_wait_alu 0xfffd
	v_cndmask_b32_e64 v7, 0, 1, vcc_lo
	s_delay_alu instid0(VALU_DEP_2) | instskip(NEXT) | instid1(VALU_DEP_2)
	v_cmp_lt_i32_e32 vcc_lo, 5, v18
	v_and_or_b32 v2, 0xffe, v15, v7
	v_sub_nc_u32_e32 v7, 0x3f1, v16
	v_lshrrev_b32_e32 v15, 16, v10
	v_cmp_eq_u32_e64 s0, 3, v18
	v_lshl_or_b32 v18, v14, 16, v9
	v_lshrrev_b32_e32 v9, 2, v13
	v_or_b32_e32 v19, 0x1000, v2
	v_med3_i32 v7, v7, 0, 13
	v_mul_f16_e32 v21, v42, v15
	s_or_b32 vcc_lo, s0, vcc_lo
	v_add_nc_u32_e32 v16, 0xfffffc10, v16
	s_wait_alu 0xfffe
	v_add_co_ci_u32_e32 v9, vcc_lo, 0, v9, vcc_lo
	v_lshrrev_b32_e32 v22, v7, v19
	v_cmp_ne_u32_e32 vcc_lo, 0, v17
	v_fmac_f16_e32 v21, v39, v10
	s_delay_alu instid0(VALU_DEP_3)
	v_lshlrev_b32_e32 v7, v7, v22
	s_wait_alu 0xfffd
	v_cndmask_b32_e64 v13, 0, 1, vcc_lo
	v_cmp_gt_i32_e32 vcc_lo, 31, v20
	v_cvt_f32_f16_e32 v14, v21
	v_and_or_b32 v4, 0x1ff, v5, v4
	s_delay_alu instid0(VALU_DEP_4)
	v_lshl_or_b32 v21, v13, 9, 0x7c00
	s_wait_alu 0xfffd
	v_cndmask_b32_e32 v17, 0x7c00, v9, vcc_lo
	v_cmp_ne_u32_e32 vcc_lo, v7, v19
	v_cvt_f64_f32_e32 v[13:14], v14
	v_mul_f16_e32 v9, v42, v10
	v_lshrrev_b32_e32 v10, 8, v5
	v_bfe_u32 v19, v5, 20, 11
	s_wait_alu 0xfffd
	v_cndmask_b32_e64 v7, 0, 1, vcc_lo
	v_cmp_ne_u32_e32 vcc_lo, 0, v4
	v_fma_f16 v15, v39, v15, -v9
	v_lshrrev_b32_e32 v5, 16, v5
	s_delay_alu instid0(VALU_DEP_4) | instskip(SKIP_4) | instid1(VALU_DEP_3)
	v_or_b32_e32 v7, v22, v7
	s_wait_alu 0xfffd
	v_cndmask_b32_e64 v4, 0, 1, vcc_lo
	v_lshl_or_b32 v22, v16, 12, v2
	v_cmp_gt_i32_e32 vcc_lo, 1, v16
	v_and_or_b32 v4, 0xffe, v10, v4
	v_mul_f64_e32 v[9:10], s[2:3], v[11:12]
	v_sub_nc_u32_e32 v11, 0x3f1, v19
	v_cvt_f32_f16_e32 v12, v15
	s_wait_alu 0xfffd
	v_cndmask_b32_e32 v15, v22, v7, vcc_lo
	v_cmp_eq_u32_e32 vcc_lo, 0x40f, v20
	v_or_b32_e32 v22, 0x1000, v4
	v_med3_i32 v23, v11, 0, 13
	v_cvt_f64_f32_e32 v[11:12], v12
	v_lshrrev_b32_e32 v20, 16, v6
	s_wait_alu 0xfffd
	v_cndmask_b32_e32 v17, v17, v21, vcc_lo
	v_and_b32_e32 v21, 7, v15
	v_add_co_u32 v6, vcc_lo, v0, s6
	v_lshrrev_b32_e32 v24, v23, v22
	s_wait_alu 0xfffd
	v_add_co_ci_u32_e32 v7, vcc_lo, s7, v1, vcc_lo
	v_cmp_lt_i32_e32 vcc_lo, 5, v21
	v_cmp_eq_u32_e64 s0, 3, v21
	v_lshrrev_b32_e32 v15, 2, v15
	v_lshlrev_b32_e32 v23, v23, v24
	v_and_or_b32 v17, 0x8000, v20, v17
	v_add_nc_u32_e32 v19, 0xfffffc10, v19
	s_or_b32 vcc_lo, s0, vcc_lo
	v_mul_f64_e32 v[13:14], s[2:3], v[13:14]
	s_wait_alu 0xfffe
	v_add_co_ci_u32_e32 v15, vcc_lo, 0, v15, vcc_lo
	v_cmp_ne_u32_e64 s1, v23, v22
	v_cmp_ne_u32_e32 vcc_lo, 0, v2
	v_lshl_or_b32 v21, v19, 12, v4
	s_wait_alu 0xf1ff
	s_delay_alu instid0(VALU_DEP_3) | instskip(SKIP_3) | instid1(VALU_DEP_3)
	v_cndmask_b32_e64 v20, 0, 1, s1
	s_wait_alu 0xfffd
	v_cndmask_b32_e64 v2, 0, 1, vcc_lo
	v_cmp_gt_i32_e32 vcc_lo, 31, v16
	v_or_b32_e32 v20, v24, v20
	s_delay_alu instid0(VALU_DEP_3)
	v_lshl_or_b32 v2, v2, 9, 0x7c00
	s_wait_alu 0xfffd
	v_cndmask_b32_e32 v15, 0x7c00, v15, vcc_lo
	v_cmp_gt_i32_e32 vcc_lo, 1, v19
	v_and_or_b32 v9, 0x1ff, v10, v9
	v_lshrrev_b32_e32 v22, 8, v10
	s_wait_alu 0xfffd
	v_cndmask_b32_e32 v20, v21, v20, vcc_lo
	v_cmp_eq_u32_e32 vcc_lo, 0x40f, v16
	s_delay_alu instid0(VALU_DEP_2)
	v_and_b32_e32 v16, 7, v20
	s_wait_alu 0xfffd
	v_cndmask_b32_e32 v2, v15, v2, vcc_lo
	v_lshrrev_b32_e32 v15, 16, v8
	v_cmp_ne_u32_e32 vcc_lo, 0, v9
	v_mul_f64_e32 v[8:9], s[2:3], v[11:12]
	v_and_b32_e32 v12, 0xffff, v17
	v_bfe_u32 v11, v10, 20, 11
	v_and_or_b32 v2, 0x8000, v15, v2
	s_wait_alu 0xfffd
	v_cndmask_b32_e64 v21, 0, 1, vcc_lo
	v_cmp_lt_i32_e32 vcc_lo, 5, v16
	v_cmp_eq_u32_e64 s0, 3, v16
	v_sub_nc_u32_e32 v17, 0x3f1, v11
	v_lshl_or_b32 v2, v2, 16, v12
	v_lshrrev_b32_e32 v12, 2, v20
	v_and_or_b32 v15, 0xffe, v22, v21
	s_or_b32 vcc_lo, s0, vcc_lo
	v_med3_i32 v17, v17, 0, 13
	v_and_or_b32 v13, 0x1ff, v14, v13
	s_wait_alu 0xfffe
	v_add_co_ci_u32_e32 v12, vcc_lo, 0, v12, vcc_lo
	v_or_b32_e32 v16, 0x1000, v15
	v_cmp_ne_u32_e32 vcc_lo, 0, v4
	v_lshrrev_b32_e32 v21, 8, v14
	v_bfe_u32 v22, v14, 20, 11
	v_add_nc_u32_e32 v11, 0xfffffc10, v11
	v_lshrrev_b32_e32 v20, v17, v16
	s_wait_alu 0xfffd
	v_cndmask_b32_e64 v4, 0, 1, vcc_lo
	v_cmp_gt_i32_e32 vcc_lo, 31, v19
	v_lshrrev_b32_e32 v10, 16, v10
	v_lshlrev_b32_e32 v17, v17, v20
	s_delay_alu instid0(VALU_DEP_4)
	v_lshl_or_b32 v4, v4, 9, 0x7c00
	s_wait_alu 0xfffd
	v_cndmask_b32_e32 v12, 0x7c00, v12, vcc_lo
	v_cmp_ne_u32_e32 vcc_lo, 0, v13
	s_wait_alu 0xfffd
	v_cndmask_b32_e64 v13, 0, 1, vcc_lo
	v_cmp_ne_u32_e32 vcc_lo, v17, v16
	v_sub_nc_u32_e32 v17, 0x3f1, v22
	v_and_or_b32 v8, 0x1ff, v9, v8
	s_delay_alu instid0(VALU_DEP_4)
	v_and_or_b32 v13, 0xffe, v21, v13
	s_wait_alu 0xfffd
	v_cndmask_b32_e64 v16, 0, 1, vcc_lo
	v_cmp_eq_u32_e32 vcc_lo, 0x40f, v19
	v_med3_i32 v17, v17, 0, 13
	v_bfe_u32 v21, v9, 20, 11
	v_or_b32_e32 v19, 0x1000, v13
	s_wait_alu 0xfffd
	v_cndmask_b32_e32 v4, v12, v4, vcc_lo
	v_or_b32_e32 v12, v20, v16
	v_lshl_or_b32 v16, v11, 12, v15
	v_cmp_gt_i32_e32 vcc_lo, 1, v11
	v_lshrrev_b32_e32 v20, 8, v9
	v_and_or_b32 v4, 0x8000, v5, v4
	v_lshrrev_b32_e32 v9, 16, v9
	s_wait_alu 0xfffd
	v_cndmask_b32_e32 v12, v16, v12, vcc_lo
	v_lshrrev_b32_e32 v16, v17, v19
	v_cmp_ne_u32_e32 vcc_lo, 0, v8
	s_delay_alu instid0(VALU_DEP_3) | instskip(NEXT) | instid1(VALU_DEP_3)
	v_and_b32_e32 v23, 7, v12
	v_lshlrev_b32_e32 v17, v17, v16
	s_wait_alu 0xfffd
	v_cndmask_b32_e64 v8, 0, 1, vcc_lo
	v_lshrrev_b32_e32 v12, 2, v12
	v_cmp_lt_i32_e32 vcc_lo, 5, v23
	v_cmp_ne_u32_e64 s0, v17, v19
	s_delay_alu instid0(VALU_DEP_4)
	v_and_or_b32 v5, 0xffe, v20, v8
	v_sub_nc_u32_e32 v8, 0x3f1, v21
	v_add_nc_u32_e32 v20, 0xfffffc10, v22
	s_wait_alu 0xf1ff
	v_cndmask_b32_e64 v17, 0, 1, s0
	v_cmp_eq_u32_e64 s0, 3, v23
	v_or_b32_e32 v19, 0x1000, v5
	v_med3_i32 v8, v8, 0, 13
	v_lshl_or_b32 v22, v20, 12, v13
	v_or_b32_e32 v16, v16, v17
	s_or_b32 vcc_lo, s0, vcc_lo
	s_wait_alu 0xfffe
	v_add_co_ci_u32_e32 v12, vcc_lo, 0, v12, vcc_lo
	v_lshrrev_b32_e32 v17, v8, v19
	v_cmp_gt_i32_e32 vcc_lo, 1, v20
	s_delay_alu instid0(VALU_DEP_2)
	v_lshlrev_b32_e32 v8, v8, v17
	s_wait_alu 0xfffd
	v_cndmask_b32_e32 v16, v22, v16, vcc_lo
	v_cmp_ne_u32_e32 vcc_lo, 0, v15
	s_wait_alu 0xfffd
	v_cndmask_b32_e64 v15, 0, 1, vcc_lo
	v_cmp_ne_u32_e32 vcc_lo, v8, v19
	v_add_nc_u32_e32 v19, 0xfffffc10, v21
	v_and_b32_e32 v21, 7, v16
	s_delay_alu instid0(VALU_DEP_4)
	v_lshl_or_b32 v15, v15, 9, 0x7c00
	s_wait_alu 0xfffd
	v_cndmask_b32_e64 v8, 0, 1, vcc_lo
	v_cmp_gt_i32_e32 vcc_lo, 31, v11
	v_cmp_gt_i32_e64 s1, 1, v19
	v_cmp_eq_u32_e64 s0, 3, v21
	s_delay_alu instid0(VALU_DEP_4)
	v_or_b32_e32 v8, v17, v8
	v_lshl_or_b32 v17, v19, 12, v5
	s_wait_alu 0xfffd
	v_cndmask_b32_e32 v12, 0x7c00, v12, vcc_lo
	v_cmp_lt_i32_e32 vcc_lo, 5, v21
	s_wait_alu 0xf1ff
	v_cndmask_b32_e64 v8, v17, v8, s1
	v_cmp_eq_u32_e64 s1, 0x40f, v11
	s_or_b32 vcc_lo, s0, vcc_lo
	s_delay_alu instid0(VALU_DEP_1)
	v_cndmask_b32_e64 v11, v12, v15, s1
	v_lshrrev_b32_e32 v12, 2, v16
	v_and_b32_e32 v15, 7, v8
	v_lshrrev_b32_e32 v8, 2, v8
	v_cmp_gt_i32_e64 s1, 31, v20
	v_and_or_b32 v10, 0x8000, v10, v11
	s_wait_alu 0xfffe
	v_add_co_ci_u32_e32 v12, vcc_lo, 0, v12, vcc_lo
	v_cmp_ne_u32_e32 vcc_lo, 0, v13
	v_cmp_eq_u32_e64 s0, 3, v15
	v_and_b32_e32 v11, 0xffff, v4
	s_wait_alu 0xf1ff
	v_cndmask_b32_e64 v12, 0x7c00, v12, s1
	s_wait_alu 0xfffd
	v_cndmask_b32_e64 v13, 0, 1, vcc_lo
	v_cmp_lt_i32_e32 vcc_lo, 5, v15
	s_delay_alu instid0(VALU_DEP_2)
	v_lshl_or_b32 v13, v13, 9, 0x7c00
	s_or_b32 vcc_lo, s0, vcc_lo
	s_wait_alu 0xfffe
	v_add_co_ci_u32_e32 v8, vcc_lo, 0, v8, vcc_lo
	v_cmp_ne_u32_e32 vcc_lo, 0, v5
	s_wait_alu 0xfffd
	v_cndmask_b32_e64 v5, 0, 1, vcc_lo
	v_cmp_eq_u32_e32 vcc_lo, 0x40f, v20
	s_delay_alu instid0(VALU_DEP_2)
	v_lshl_or_b32 v5, v5, 9, 0x7c00
	s_wait_alu 0xfffd
	v_cndmask_b32_e32 v12, v12, v13, vcc_lo
	v_cmp_gt_i32_e32 vcc_lo, 31, v19
	v_lshrrev_b32_e32 v13, 16, v14
	s_wait_alu 0xfffd
	v_cndmask_b32_e32 v8, 0x7c00, v8, vcc_lo
	v_cmp_eq_u32_e32 vcc_lo, 0x40f, v19
	s_delay_alu instid0(VALU_DEP_3)
	v_and_or_b32 v12, 0x8000, v13, v12
	v_lshl_or_b32 v13, v10, 16, v11
	s_wait_alu 0xfffd
	v_cndmask_b32_e32 v8, v8, v5, vcc_lo
	v_add_co_u32 v4, vcc_lo, v6, s6
	s_wait_alu 0xfffd
	v_add_co_ci_u32_e32 v5, vcc_lo, s7, v7, vcc_lo
	s_delay_alu instid0(VALU_DEP_3) | instskip(SKIP_4) | instid1(VALU_DEP_3)
	v_and_or_b32 v10, 0x8000, v9, v8
	v_and_b32_e32 v11, 0xffff, v12
	v_add_co_u32 v8, vcc_lo, v4, s6
	s_wait_alu 0xfffd
	v_add_co_ci_u32_e32 v9, vcc_lo, s7, v5, vcc_lo
	v_lshl_or_b32 v12, v10, 16, v11
	s_delay_alu instid0(VALU_DEP_3) | instskip(SKIP_1) | instid1(VALU_DEP_3)
	v_add_co_u32 v10, vcc_lo, v8, s6
	s_wait_alu 0xfffd
	v_add_co_ci_u32_e32 v11, vcc_lo, s7, v9, vcc_lo
	global_store_b32 v[0:1], v3, off
	global_store_b32 v[6:7], v18, off
	;; [unrolled: 1-line block ×5, first 2 shown]
.LBB0_2:
	s_nop 0
	s_sendmsg sendmsg(MSG_DEALLOC_VGPRS)
	s_endpgm
	.section	.rodata,"a",@progbits
	.p2align	6, 0x0
	.amdhsa_kernel bluestein_single_fwd_len12288_dim1_half_op_CI_CI
		.amdhsa_group_segment_fixed_size 49152
		.amdhsa_private_segment_fixed_size 0
		.amdhsa_kernarg_size 104
		.amdhsa_user_sgpr_count 2
		.amdhsa_user_sgpr_dispatch_ptr 0
		.amdhsa_user_sgpr_queue_ptr 0
		.amdhsa_user_sgpr_kernarg_segment_ptr 1
		.amdhsa_user_sgpr_dispatch_id 0
		.amdhsa_user_sgpr_private_segment_size 0
		.amdhsa_wavefront_size32 1
		.amdhsa_uses_dynamic_stack 0
		.amdhsa_enable_private_segment 0
		.amdhsa_system_sgpr_workgroup_id_x 1
		.amdhsa_system_sgpr_workgroup_id_y 0
		.amdhsa_system_sgpr_workgroup_id_z 0
		.amdhsa_system_sgpr_workgroup_info 0
		.amdhsa_system_vgpr_workitem_id 0
		.amdhsa_next_free_vgpr 211
		.amdhsa_next_free_sgpr 20
		.amdhsa_reserve_vcc 1
		.amdhsa_float_round_mode_32 0
		.amdhsa_float_round_mode_16_64 0
		.amdhsa_float_denorm_mode_32 3
		.amdhsa_float_denorm_mode_16_64 3
		.amdhsa_fp16_overflow 0
		.amdhsa_workgroup_processor_mode 1
		.amdhsa_memory_ordered 1
		.amdhsa_forward_progress 0
		.amdhsa_round_robin_scheduling 0
		.amdhsa_exception_fp_ieee_invalid_op 0
		.amdhsa_exception_fp_denorm_src 0
		.amdhsa_exception_fp_ieee_div_zero 0
		.amdhsa_exception_fp_ieee_overflow 0
		.amdhsa_exception_fp_ieee_underflow 0
		.amdhsa_exception_fp_ieee_inexact 0
		.amdhsa_exception_int_div_zero 0
	.end_amdhsa_kernel
	.text
.Lfunc_end0:
	.size	bluestein_single_fwd_len12288_dim1_half_op_CI_CI, .Lfunc_end0-bluestein_single_fwd_len12288_dim1_half_op_CI_CI
                                        ; -- End function
	.section	.AMDGPU.csdata,"",@progbits
; Kernel info:
; codeLenInByte = 41020
; NumSgprs: 22
; NumVgprs: 211
; ScratchSize: 0
; MemoryBound: 0
; FloatMode: 240
; IeeeMode: 1
; LDSByteSize: 49152 bytes/workgroup (compile time only)
; SGPRBlocks: 2
; VGPRBlocks: 26
; NumSGPRsForWavesPerEU: 22
; NumVGPRsForWavesPerEU: 211
; Occupancy: 7
; WaveLimiterHint : 1
; COMPUTE_PGM_RSRC2:SCRATCH_EN: 0
; COMPUTE_PGM_RSRC2:USER_SGPR: 2
; COMPUTE_PGM_RSRC2:TRAP_HANDLER: 0
; COMPUTE_PGM_RSRC2:TGID_X_EN: 1
; COMPUTE_PGM_RSRC2:TGID_Y_EN: 0
; COMPUTE_PGM_RSRC2:TGID_Z_EN: 0
; COMPUTE_PGM_RSRC2:TIDIG_COMP_CNT: 0
	.text
	.p2alignl 7, 3214868480
	.fill 96, 4, 3214868480
	.type	__hip_cuid_dd5a9db9f32d989f,@object ; @__hip_cuid_dd5a9db9f32d989f
	.section	.bss,"aw",@nobits
	.globl	__hip_cuid_dd5a9db9f32d989f
__hip_cuid_dd5a9db9f32d989f:
	.byte	0                               ; 0x0
	.size	__hip_cuid_dd5a9db9f32d989f, 1

	.ident	"AMD clang version 19.0.0git (https://github.com/RadeonOpenCompute/llvm-project roc-6.4.0 25133 c7fe45cf4b819c5991fe208aaa96edf142730f1d)"
	.section	".note.GNU-stack","",@progbits
	.addrsig
	.addrsig_sym __hip_cuid_dd5a9db9f32d989f
	.amdgpu_metadata
---
amdhsa.kernels:
  - .args:
      - .actual_access:  read_only
        .address_space:  global
        .offset:         0
        .size:           8
        .value_kind:     global_buffer
      - .actual_access:  read_only
        .address_space:  global
        .offset:         8
        .size:           8
        .value_kind:     global_buffer
      - .actual_access:  read_only
        .address_space:  global
        .offset:         16
        .size:           8
        .value_kind:     global_buffer
      - .actual_access:  read_only
        .address_space:  global
        .offset:         24
        .size:           8
        .value_kind:     global_buffer
      - .actual_access:  read_only
        .address_space:  global
        .offset:         32
        .size:           8
        .value_kind:     global_buffer
      - .offset:         40
        .size:           8
        .value_kind:     by_value
      - .address_space:  global
        .offset:         48
        .size:           8
        .value_kind:     global_buffer
      - .address_space:  global
        .offset:         56
        .size:           8
        .value_kind:     global_buffer
      - .address_space:  global
        .offset:         64
        .size:           8
        .value_kind:     global_buffer
      - .address_space:  global
        .offset:         72
        .size:           8
        .value_kind:     global_buffer
      - .offset:         80
        .size:           4
        .value_kind:     by_value
      - .address_space:  global
        .offset:         88
        .size:           8
        .value_kind:     global_buffer
      - .address_space:  global
        .offset:         96
        .size:           8
        .value_kind:     global_buffer
    .group_segment_fixed_size: 49152
    .kernarg_segment_align: 8
    .kernarg_segment_size: 104
    .language:       OpenCL C
    .language_version:
      - 2
      - 0
    .max_flat_workgroup_size: 512
    .name:           bluestein_single_fwd_len12288_dim1_half_op_CI_CI
    .private_segment_fixed_size: 0
    .sgpr_count:     22
    .sgpr_spill_count: 0
    .symbol:         bluestein_single_fwd_len12288_dim1_half_op_CI_CI.kd
    .uniform_work_group_size: 1
    .uses_dynamic_stack: false
    .vgpr_count:     211
    .vgpr_spill_count: 0
    .wavefront_size: 32
    .workgroup_processor_mode: 1
amdhsa.target:   amdgcn-amd-amdhsa--gfx1201
amdhsa.version:
  - 1
  - 2
...

	.end_amdgpu_metadata
